;; amdgpu-corpus repo=ROCm/rocFFT kind=compiled arch=gfx1201 opt=O3
	.text
	.amdgcn_target "amdgcn-amd-amdhsa--gfx1201"
	.amdhsa_code_object_version 6
	.protected	fft_rtc_back_len3750_factors_3_5_5_10_5_wgs_125_tpt_125_halfLds_sp_op_CI_CI_unitstride_sbrr_dirReg ; -- Begin function fft_rtc_back_len3750_factors_3_5_5_10_5_wgs_125_tpt_125_halfLds_sp_op_CI_CI_unitstride_sbrr_dirReg
	.globl	fft_rtc_back_len3750_factors_3_5_5_10_5_wgs_125_tpt_125_halfLds_sp_op_CI_CI_unitstride_sbrr_dirReg
	.p2align	8
	.type	fft_rtc_back_len3750_factors_3_5_5_10_5_wgs_125_tpt_125_halfLds_sp_op_CI_CI_unitstride_sbrr_dirReg,@function
fft_rtc_back_len3750_factors_3_5_5_10_5_wgs_125_tpt_125_halfLds_sp_op_CI_CI_unitstride_sbrr_dirReg: ; @fft_rtc_back_len3750_factors_3_5_5_10_5_wgs_125_tpt_125_halfLds_sp_op_CI_CI_unitstride_sbrr_dirReg
; %bb.0:
	s_clause 0x2
	s_load_b128 s[8:11], s[0:1], 0x0
	s_load_b128 s[4:7], s[0:1], 0x58
	;; [unrolled: 1-line block ×3, first 2 shown]
	v_mul_u32_u24_e32 v1, 0x20d, v0
	v_mov_b32_e32 v8, 0
	v_mov_b32_e32 v9, 0
	s_delay_alu instid0(VALU_DEP_3) | instskip(NEXT) | instid1(VALU_DEP_1)
	v_lshrrev_b32_e32 v2, 16, v1
	v_dual_mov_b32 v1, 0 :: v_dual_add_nc_u32 v10, ttmp9, v2
	s_delay_alu instid0(VALU_DEP_1) | instskip(SKIP_2) | instid1(VALU_DEP_1)
	v_mov_b32_e32 v11, v1
	s_wait_kmcnt 0x0
	v_cmp_lt_u64_e64 s2, s[10:11], 2
	s_and_b32 vcc_lo, exec_lo, s2
	s_cbranch_vccnz .LBB0_8
; %bb.1:
	s_load_b64 s[2:3], s[0:1], 0x10
	v_mov_b32_e32 v8, 0
	v_mov_b32_e32 v9, 0
	s_delay_alu instid0(VALU_DEP_2)
	v_mov_b32_e32 v4, v8
	s_add_nc_u64 s[16:17], s[14:15], 8
	s_add_nc_u64 s[18:19], s[12:13], 8
	s_mov_b64 s[20:21], 1
	v_mov_b32_e32 v5, v9
	s_wait_kmcnt 0x0
	s_add_nc_u64 s[22:23], s[2:3], 8
	s_mov_b32 s3, 0
.LBB0_2:                                ; =>This Inner Loop Header: Depth=1
	s_load_b64 s[24:25], s[22:23], 0x0
                                        ; implicit-def: $vgpr6_vgpr7
	s_mov_b32 s2, exec_lo
	s_wait_kmcnt 0x0
	v_or_b32_e32 v2, s25, v11
	s_delay_alu instid0(VALU_DEP_1)
	v_cmpx_ne_u64_e32 0, v[1:2]
	s_wait_alu 0xfffe
	s_xor_b32 s26, exec_lo, s2
	s_cbranch_execz .LBB0_4
; %bb.3:                                ;   in Loop: Header=BB0_2 Depth=1
	s_cvt_f32_u32 s2, s24
	s_cvt_f32_u32 s27, s25
	s_sub_nc_u64 s[30:31], 0, s[24:25]
	s_wait_alu 0xfffe
	s_delay_alu instid0(SALU_CYCLE_1) | instskip(SKIP_1) | instid1(SALU_CYCLE_2)
	s_fmamk_f32 s2, s27, 0x4f800000, s2
	s_wait_alu 0xfffe
	v_s_rcp_f32 s2, s2
	s_delay_alu instid0(TRANS32_DEP_1) | instskip(SKIP_1) | instid1(SALU_CYCLE_2)
	s_mul_f32 s2, s2, 0x5f7ffffc
	s_wait_alu 0xfffe
	s_mul_f32 s27, s2, 0x2f800000
	s_wait_alu 0xfffe
	s_delay_alu instid0(SALU_CYCLE_2) | instskip(SKIP_1) | instid1(SALU_CYCLE_2)
	s_trunc_f32 s27, s27
	s_wait_alu 0xfffe
	s_fmamk_f32 s2, s27, 0xcf800000, s2
	s_cvt_u32_f32 s29, s27
	s_wait_alu 0xfffe
	s_delay_alu instid0(SALU_CYCLE_1) | instskip(SKIP_1) | instid1(SALU_CYCLE_2)
	s_cvt_u32_f32 s28, s2
	s_wait_alu 0xfffe
	s_mul_u64 s[34:35], s[30:31], s[28:29]
	s_wait_alu 0xfffe
	s_mul_hi_u32 s37, s28, s35
	s_mul_i32 s36, s28, s35
	s_mul_hi_u32 s2, s28, s34
	s_mul_i32 s33, s29, s34
	s_wait_alu 0xfffe
	s_add_nc_u64 s[36:37], s[2:3], s[36:37]
	s_mul_hi_u32 s27, s29, s34
	s_mul_hi_u32 s38, s29, s35
	s_add_co_u32 s2, s36, s33
	s_wait_alu 0xfffe
	s_add_co_ci_u32 s2, s37, s27
	s_mul_i32 s34, s29, s35
	s_add_co_ci_u32 s35, s38, 0
	s_wait_alu 0xfffe
	s_add_nc_u64 s[34:35], s[2:3], s[34:35]
	s_wait_alu 0xfffe
	v_add_co_u32 v2, s2, s28, s34
	s_delay_alu instid0(VALU_DEP_1) | instskip(SKIP_1) | instid1(VALU_DEP_1)
	s_cmp_lg_u32 s2, 0
	s_add_co_ci_u32 s29, s29, s35
	v_readfirstlane_b32 s28, v2
	s_wait_alu 0xfffe
	s_delay_alu instid0(VALU_DEP_1)
	s_mul_u64 s[30:31], s[30:31], s[28:29]
	s_wait_alu 0xfffe
	s_mul_hi_u32 s35, s28, s31
	s_mul_i32 s34, s28, s31
	s_mul_hi_u32 s2, s28, s30
	s_mul_i32 s33, s29, s30
	s_wait_alu 0xfffe
	s_add_nc_u64 s[34:35], s[2:3], s[34:35]
	s_mul_hi_u32 s27, s29, s30
	s_mul_hi_u32 s28, s29, s31
	s_wait_alu 0xfffe
	s_add_co_u32 s2, s34, s33
	s_add_co_ci_u32 s2, s35, s27
	s_mul_i32 s30, s29, s31
	s_add_co_ci_u32 s31, s28, 0
	s_wait_alu 0xfffe
	s_add_nc_u64 s[30:31], s[2:3], s[30:31]
	s_wait_alu 0xfffe
	v_add_co_u32 v6, s2, v2, s30
	s_delay_alu instid0(VALU_DEP_1) | instskip(SKIP_1) | instid1(VALU_DEP_1)
	s_cmp_lg_u32 s2, 0
	s_add_co_ci_u32 s2, s29, s31
	v_mul_hi_u32 v14, v10, v6
	s_wait_alu 0xfffe
	v_mad_co_u64_u32 v[2:3], null, v10, s2, 0
	v_mad_co_u64_u32 v[6:7], null, v11, v6, 0
	;; [unrolled: 1-line block ×3, first 2 shown]
	s_delay_alu instid0(VALU_DEP_3) | instskip(SKIP_1) | instid1(VALU_DEP_4)
	v_add_co_u32 v2, vcc_lo, v14, v2
	s_wait_alu 0xfffd
	v_add_co_ci_u32_e32 v3, vcc_lo, 0, v3, vcc_lo
	s_delay_alu instid0(VALU_DEP_2) | instskip(SKIP_1) | instid1(VALU_DEP_2)
	v_add_co_u32 v2, vcc_lo, v2, v6
	s_wait_alu 0xfffd
	v_add_co_ci_u32_e32 v2, vcc_lo, v3, v7, vcc_lo
	s_wait_alu 0xfffd
	v_add_co_ci_u32_e32 v3, vcc_lo, 0, v13, vcc_lo
	s_delay_alu instid0(VALU_DEP_2) | instskip(SKIP_1) | instid1(VALU_DEP_2)
	v_add_co_u32 v6, vcc_lo, v2, v12
	s_wait_alu 0xfffd
	v_add_co_ci_u32_e32 v7, vcc_lo, 0, v3, vcc_lo
	s_delay_alu instid0(VALU_DEP_2) | instskip(SKIP_1) | instid1(VALU_DEP_3)
	v_mul_lo_u32 v12, s25, v6
	v_mad_co_u64_u32 v[2:3], null, s24, v6, 0
	v_mul_lo_u32 v13, s24, v7
	s_delay_alu instid0(VALU_DEP_2) | instskip(NEXT) | instid1(VALU_DEP_2)
	v_sub_co_u32 v2, vcc_lo, v10, v2
	v_add3_u32 v3, v3, v13, v12
	s_delay_alu instid0(VALU_DEP_1) | instskip(SKIP_1) | instid1(VALU_DEP_1)
	v_sub_nc_u32_e32 v12, v11, v3
	s_wait_alu 0xfffd
	v_subrev_co_ci_u32_e64 v12, s2, s25, v12, vcc_lo
	v_add_co_u32 v13, s2, v6, 2
	s_wait_alu 0xf1ff
	v_add_co_ci_u32_e64 v14, s2, 0, v7, s2
	v_sub_co_u32 v15, s2, v2, s24
	v_sub_co_ci_u32_e32 v3, vcc_lo, v11, v3, vcc_lo
	s_wait_alu 0xf1ff
	v_subrev_co_ci_u32_e64 v12, s2, 0, v12, s2
	s_delay_alu instid0(VALU_DEP_3) | instskip(NEXT) | instid1(VALU_DEP_3)
	v_cmp_le_u32_e32 vcc_lo, s24, v15
	v_cmp_eq_u32_e64 s2, s25, v3
	s_wait_alu 0xfffd
	v_cndmask_b32_e64 v15, 0, -1, vcc_lo
	v_cmp_le_u32_e32 vcc_lo, s25, v12
	s_wait_alu 0xfffd
	v_cndmask_b32_e64 v16, 0, -1, vcc_lo
	v_cmp_le_u32_e32 vcc_lo, s24, v2
	;; [unrolled: 3-line block ×3, first 2 shown]
	s_wait_alu 0xfffd
	v_cndmask_b32_e64 v17, 0, -1, vcc_lo
	v_cmp_eq_u32_e32 vcc_lo, s25, v12
	s_wait_alu 0xf1ff
	s_delay_alu instid0(VALU_DEP_2)
	v_cndmask_b32_e64 v2, v17, v2, s2
	s_wait_alu 0xfffd
	v_cndmask_b32_e32 v12, v16, v15, vcc_lo
	v_add_co_u32 v15, vcc_lo, v6, 1
	s_wait_alu 0xfffd
	v_add_co_ci_u32_e32 v16, vcc_lo, 0, v7, vcc_lo
	s_delay_alu instid0(VALU_DEP_3) | instskip(SKIP_1) | instid1(VALU_DEP_2)
	v_cmp_ne_u32_e32 vcc_lo, 0, v12
	s_wait_alu 0xfffd
	v_dual_cndmask_b32 v3, v16, v14 :: v_dual_cndmask_b32 v12, v15, v13
	v_cmp_ne_u32_e32 vcc_lo, 0, v2
	s_wait_alu 0xfffd
	s_delay_alu instid0(VALU_DEP_2)
	v_dual_cndmask_b32 v7, v7, v3 :: v_dual_cndmask_b32 v6, v6, v12
.LBB0_4:                                ;   in Loop: Header=BB0_2 Depth=1
	s_wait_alu 0xfffe
	s_and_not1_saveexec_b32 s2, s26
	s_cbranch_execz .LBB0_6
; %bb.5:                                ;   in Loop: Header=BB0_2 Depth=1
	v_cvt_f32_u32_e32 v2, s24
	s_sub_co_i32 s26, 0, s24
	s_delay_alu instid0(VALU_DEP_1) | instskip(NEXT) | instid1(TRANS32_DEP_1)
	v_rcp_iflag_f32_e32 v2, v2
	v_mul_f32_e32 v2, 0x4f7ffffe, v2
	s_delay_alu instid0(VALU_DEP_1) | instskip(SKIP_1) | instid1(VALU_DEP_1)
	v_cvt_u32_f32_e32 v2, v2
	s_wait_alu 0xfffe
	v_mul_lo_u32 v3, s26, v2
	s_delay_alu instid0(VALU_DEP_1) | instskip(NEXT) | instid1(VALU_DEP_1)
	v_mul_hi_u32 v3, v2, v3
	v_add_nc_u32_e32 v2, v2, v3
	s_delay_alu instid0(VALU_DEP_1) | instskip(NEXT) | instid1(VALU_DEP_1)
	v_mul_hi_u32 v2, v10, v2
	v_mul_lo_u32 v3, v2, s24
	v_add_nc_u32_e32 v6, 1, v2
	s_delay_alu instid0(VALU_DEP_2) | instskip(NEXT) | instid1(VALU_DEP_1)
	v_sub_nc_u32_e32 v3, v10, v3
	v_subrev_nc_u32_e32 v7, s24, v3
	v_cmp_le_u32_e32 vcc_lo, s24, v3
	s_wait_alu 0xfffd
	s_delay_alu instid0(VALU_DEP_2) | instskip(SKIP_1) | instid1(VALU_DEP_2)
	v_cndmask_b32_e32 v3, v3, v7, vcc_lo
	v_dual_mov_b32 v7, v1 :: v_dual_cndmask_b32 v2, v2, v6
	v_cmp_le_u32_e32 vcc_lo, s24, v3
	s_delay_alu instid0(VALU_DEP_2) | instskip(SKIP_1) | instid1(VALU_DEP_1)
	v_add_nc_u32_e32 v6, 1, v2
	s_wait_alu 0xfffd
	v_cndmask_b32_e32 v6, v2, v6, vcc_lo
.LBB0_6:                                ;   in Loop: Header=BB0_2 Depth=1
	s_wait_alu 0xfffe
	s_or_b32 exec_lo, exec_lo, s2
	v_mul_lo_u32 v12, v7, s24
	s_delay_alu instid0(VALU_DEP_2)
	v_mul_lo_u32 v13, v6, s25
	s_load_b64 s[26:27], s[18:19], 0x0
	v_mad_co_u64_u32 v[2:3], null, v6, s24, 0
	s_load_b64 s[24:25], s[16:17], 0x0
	s_add_nc_u64 s[20:21], s[20:21], 1
	s_add_nc_u64 s[16:17], s[16:17], 8
	s_wait_alu 0xfffe
	v_cmp_ge_u64_e64 s2, s[20:21], s[10:11]
	s_add_nc_u64 s[18:19], s[18:19], 8
	s_add_nc_u64 s[22:23], s[22:23], 8
	v_add3_u32 v3, v3, v13, v12
	v_sub_co_u32 v2, vcc_lo, v10, v2
	s_wait_alu 0xfffd
	s_delay_alu instid0(VALU_DEP_2) | instskip(SKIP_2) | instid1(VALU_DEP_1)
	v_sub_co_ci_u32_e32 v3, vcc_lo, v11, v3, vcc_lo
	s_and_b32 vcc_lo, exec_lo, s2
	s_wait_kmcnt 0x0
	v_mul_lo_u32 v10, s26, v3
	v_mul_lo_u32 v11, s27, v2
	v_mad_co_u64_u32 v[8:9], null, s26, v2, v[8:9]
	v_mul_lo_u32 v3, s24, v3
	v_mul_lo_u32 v12, s25, v2
	v_mad_co_u64_u32 v[4:5], null, s24, v2, v[4:5]
	s_delay_alu instid0(VALU_DEP_4) | instskip(NEXT) | instid1(VALU_DEP_2)
	v_add3_u32 v9, v11, v9, v10
	v_add3_u32 v5, v12, v5, v3
	s_wait_alu 0xfffe
	s_cbranch_vccnz .LBB0_9
; %bb.7:                                ;   in Loop: Header=BB0_2 Depth=1
	v_dual_mov_b32 v11, v7 :: v_dual_mov_b32 v10, v6
	s_branch .LBB0_2
.LBB0_8:
	v_dual_mov_b32 v4, v8 :: v_dual_mov_b32 v5, v9
	v_dual_mov_b32 v6, v10 :: v_dual_mov_b32 v7, v11
.LBB0_9:
	s_load_b64 s[0:1], s[0:1], 0x28
	v_mul_hi_u32 v2, 0x20c49bb, v0
	s_lshl_b64 s[10:11], s[10:11], 3
                                        ; implicit-def: $vgpr85
	s_wait_kmcnt 0x0
	v_cmp_gt_u64_e32 vcc_lo, s[0:1], v[6:7]
	v_cmp_le_u64_e64 s0, s[0:1], v[6:7]
	s_delay_alu instid0(VALU_DEP_1)
	s_and_saveexec_b32 s1, s0
	s_wait_alu 0xfffe
	s_xor_b32 s0, exec_lo, s1
; %bb.10:
	v_mul_u32_u24_e32 v1, 0x7d, v2
                                        ; implicit-def: $vgpr2
                                        ; implicit-def: $vgpr8_vgpr9
	s_delay_alu instid0(VALU_DEP_1)
	v_sub_nc_u32_e32 v85, v0, v1
                                        ; implicit-def: $vgpr0
; %bb.11:
	s_wait_alu 0xfffe
	s_or_saveexec_b32 s1, s0
	s_add_nc_u64 s[2:3], s[14:15], s[10:11]
                                        ; implicit-def: $vgpr34
                                        ; implicit-def: $vgpr32
                                        ; implicit-def: $vgpr1
                                        ; implicit-def: $vgpr76
                                        ; implicit-def: $vgpr72
                                        ; implicit-def: $vgpr24
                                        ; implicit-def: $vgpr64
                                        ; implicit-def: $vgpr80
                                        ; implicit-def: $vgpr20
                                        ; implicit-def: $vgpr68
                                        ; implicit-def: $vgpr82
                                        ; implicit-def: $vgpr26
                                        ; implicit-def: $vgpr70
                                        ; implicit-def: $vgpr60
                                        ; implicit-def: $vgpr28
                                        ; implicit-def: $vgpr78
                                        ; implicit-def: $vgpr62
                                        ; implicit-def: $vgpr30
                                        ; implicit-def: $vgpr66
                                        ; implicit-def: $vgpr74
                                        ; implicit-def: $vgpr22
                                        ; implicit-def: $vgpr10
                                        ; implicit-def: $vgpr12
                                        ; implicit-def: $vgpr16
                                        ; implicit-def: $vgpr36
                                        ; implicit-def: $vgpr14
                                        ; implicit-def: $vgpr3
                                        ; implicit-def: $vgpr56
                                        ; implicit-def: $vgpr84
                                        ; implicit-def: $vgpr18
	s_wait_alu 0xfffe
	s_xor_b32 exec_lo, exec_lo, s1
	s_cbranch_execz .LBB0_13
; %bb.12:
	s_add_nc_u64 s[10:11], s[12:13], s[10:11]
	v_lshlrev_b64_e32 v[8:9], 3, v[8:9]
	s_load_b64 s[10:11], s[10:11], 0x0
	s_wait_kmcnt 0x0
	v_mul_lo_u32 v1, s11, v6
	v_mul_lo_u32 v3, s10, v7
	v_mad_co_u64_u32 v[10:11], null, s10, v6, 0
	s_delay_alu instid0(VALU_DEP_1) | instskip(SKIP_1) | instid1(VALU_DEP_2)
	v_add3_u32 v11, v11, v3, v1
	v_mul_u32_u24_e32 v3, 0x7d, v2
	v_lshlrev_b64_e32 v[1:2], 3, v[10:11]
	s_delay_alu instid0(VALU_DEP_2) | instskip(NEXT) | instid1(VALU_DEP_2)
	v_sub_nc_u32_e32 v85, v0, v3
	v_add_co_u32 v0, s0, s4, v1
	s_wait_alu 0xf1ff
	s_delay_alu instid0(VALU_DEP_3) | instskip(NEXT) | instid1(VALU_DEP_3)
	v_add_co_ci_u32_e64 v1, s0, s5, v2, s0
	v_lshlrev_b32_e32 v2, 3, v85
	s_delay_alu instid0(VALU_DEP_3) | instskip(SKIP_1) | instid1(VALU_DEP_3)
	v_add_co_u32 v0, s0, v0, v8
	s_wait_alu 0xf1ff
	v_add_co_ci_u32_e64 v1, s0, v1, v9, s0
	s_delay_alu instid0(VALU_DEP_2) | instskip(SKIP_1) | instid1(VALU_DEP_2)
	v_add_co_u32 v33, s0, v0, v2
	s_wait_alu 0xf1ff
	v_add_co_ci_u32_e64 v34, s0, 0, v1, s0
	s_clause 0x1d
	global_load_b64 v[13:14], v[33:34], off offset:11000
	global_load_b64 v[17:18], v[33:34], off
	global_load_b64 v[2:3], v[33:34], off offset:1000
	global_load_b64 v[15:16], v[33:34], off offset:2000
	global_load_b64 v[21:22], v[33:34], off offset:3000
	global_load_b64 v[55:56], v[33:34], off offset:20000
	global_load_b64 v[35:36], v[33:34], off offset:21000
	global_load_b64 v[9:10], v[33:34], off offset:22000
	global_load_b64 v[65:66], v[33:34], off offset:23000
	global_load_b64 v[11:12], v[33:34], off offset:12000
	global_load_b64 v[73:74], v[33:34], off offset:13000
	global_load_b64 v[61:62], v[33:34], off offset:14000
	global_load_b64 v[59:60], v[33:34], off offset:15000
	global_load_b64 v[29:30], v[33:34], off offset:4000
	global_load_b64 v[27:28], v[33:34], off offset:5000
	global_load_b64 v[25:26], v[33:34], off offset:6000
	global_load_b64 v[19:20], v[33:34], off offset:7000
	global_load_b64 v[77:78], v[33:34], off offset:24000
	global_load_b64 v[69:70], v[33:34], off offset:25000
	global_load_b64 v[67:68], v[33:34], off offset:26000
	global_load_b64 v[63:64], v[33:34], off offset:27000
	global_load_b64 v[23:24], v[33:34], off offset:8000
	global_load_b64 v[83:84], v[33:34], off offset:10000
	global_load_b64 v[0:1], v[33:34], off offset:9000
	global_load_b64 v[81:82], v[33:34], off offset:16000
	global_load_b64 v[79:80], v[33:34], off offset:17000
	global_load_b64 v[71:72], v[33:34], off offset:18000
	global_load_b64 v[31:32], v[33:34], off offset:19000
	global_load_b64 v[75:76], v[33:34], off offset:28000
	global_load_b64 v[33:34], v[33:34], off offset:29000
.LBB0_13:
	s_or_b32 exec_lo, exec_lo, s1
	s_wait_loadcnt 0x7
	v_dual_add_f32 v37, v83, v17 :: v_dual_sub_f32 v38, v84, v56
	v_add_f32_e32 v8, v55, v83
	v_dual_add_f32 v39, v35, v13 :: v_dual_sub_f32 v40, v14, v36
	s_delay_alu instid0(VALU_DEP_3) | instskip(NEXT) | instid1(VALU_DEP_3)
	v_add_f32_e32 v37, v55, v37
	v_dual_sub_f32 v104, v11, v9 :: v_dual_fmac_f32 v17, -0.5, v8
	v_add_f32_e32 v8, v13, v2
	s_delay_alu instid0(VALU_DEP_4)
	v_fmac_f32_e32 v2, -0.5, v39
	v_mad_u32_u24 v105, v85, 12, 0
	s_load_b64 s[2:3], s[2:3], 0x0
	v_fmamk_f32 v39, v38, 0xbf5db3d7, v17
	v_dual_fmac_f32 v17, 0x3f5db3d7, v38 :: v_dual_add_f32 v8, v35, v8
	v_dual_add_f32 v38, v14, v3 :: v_dual_fmamk_f32 v41, v40, 0xbf5db3d7, v2
	v_add_f32_e32 v42, v9, v11
	v_add_f32_e32 v14, v36, v14
	s_delay_alu instid0(VALU_DEP_3) | instskip(SKIP_1) | instid1(VALU_DEP_4)
	v_dual_add_f32 v101, v36, v38 :: v_dual_add_nc_u32 v106, 0x5dc, v105
	v_add_f32_e32 v36, v11, v15
	v_dual_fmac_f32 v2, 0x3f5db3d7, v40 :: v_dual_fmac_f32 v15, -0.5, v42
	v_sub_f32_e32 v102, v13, v35
	s_wait_loadcnt 0x5
	s_delay_alu instid0(VALU_DEP_3)
	v_dual_add_f32 v40, v67, v81 :: v_dual_add_f32 v13, v9, v36
	v_dual_fmac_f32 v3, -0.5, v14 :: v_dual_add_f32 v36, v65, v73
	v_sub_f32_e32 v38, v12, v10
	v_add_f32_e32 v14, v12, v16
	v_add_f32_e32 v12, v10, v12
	v_dual_add_f32 v42, v81, v25 :: v_dual_fmac_f32 v25, -0.5, v40
	v_sub_f32_e32 v40, v82, v68
	s_delay_alu instid0(VALU_DEP_4)
	v_add_f32_e32 v103, v10, v14
	v_sub_f32_e32 v14, v74, v66
	v_dual_add_f32 v10, v73, v21 :: v_dual_fmac_f32 v21, -0.5, v36
	v_add_f32_e32 v36, v59, v27
	s_wait_loadcnt 0x4
	v_add_f32_e32 v43, v63, v79
	v_fmamk_f32 v35, v38, 0xbf5db3d7, v15
	v_fmac_f32_e32 v15, 0x3f5db3d7, v38
	v_fmamk_f32 v11, v14, 0xbf5db3d7, v21
	v_dual_add_f32 v9, v65, v10 :: v_dual_fmac_f32 v16, -0.5, v12
	v_dual_fmac_f32 v21, 0x3f5db3d7, v14 :: v_dual_add_f32 v14, v69, v59
	v_add_f32_e32 v10, v77, v61
	v_add_f32_e32 v12, v61, v29
	s_wait_loadcnt 0x2
	v_dual_fmamk_f32 v44, v40, 0xbf5db3d7, v25 :: v_dual_add_f32 v47, v31, v0
	v_fmac_f32_e32 v27, -0.5, v14
	v_fmac_f32_e32 v29, -0.5, v10
	v_sub_f32_e32 v10, v62, v78
	v_dual_sub_f32 v14, v60, v70 :: v_dual_fmac_f32 v25, 0x3f5db3d7, v40
	s_wait_loadcnt 0x1
	v_add_f32_e32 v45, v75, v71
	v_add_nc_u32_e32 v107, 0xbb8, v105
	v_fmamk_f32 v38, v10, 0xbf5db3d7, v29
	v_dual_fmac_f32 v29, 0x3f5db3d7, v10 :: v_dual_add_f32 v12, v77, v12
	v_add_f32_e32 v10, v69, v36
	v_fmamk_f32 v36, v14, 0xbf5db3d7, v27
	v_fmac_f32_e32 v27, 0x3f5db3d7, v14
	v_add_f32_e32 v14, v67, v42
	v_add_f32_e32 v42, v79, v19
	v_fmac_f32_e32 v19, -0.5, v43
	v_dual_sub_f32 v43, v80, v64 :: v_dual_add_nc_u32 v108, 0x1194, v105
	s_delay_alu instid0(VALU_DEP_3) | instskip(SKIP_1) | instid1(VALU_DEP_3)
	v_dual_add_f32 v40, v63, v42 :: v_dual_add_nc_u32 v109, 0x1770, v105
	v_add_f32_e32 v42, v71, v23
	v_fmamk_f32 v46, v43, 0xbf5db3d7, v19
	v_fmac_f32_e32 v19, 0x3f5db3d7, v43
	s_wait_loadcnt 0x0
	v_add_f32_e32 v43, v33, v31
	v_fmac_f32_e32 v23, -0.5, v45
	v_sub_f32_e32 v45, v72, v76
	ds_store_2addr_b32 v106, v8, v41 offset1:1
	ds_store_2addr_b32 v107, v13, v35 offset1:1
	;; [unrolled: 1-line block ×4, first 2 shown]
	v_dual_sub_f32 v55, v83, v55 :: v_dual_add_nc_u32 v110, 0x1d50, v105
	v_dual_fmac_f32 v0, -0.5, v43 :: v_dual_sub_f32 v43, v32, v34
	ds_store_2addr_b32 v105, v37, v39 offset1:1
	ds_store_b32 v105, v17 offset:8
	ds_store_b32 v105, v2 offset:1508
	;; [unrolled: 1-line block ×6, first 2 shown]
	ds_store_2addr_b32 v110, v36, v27 offset1:1
	v_add_nc_u32_e32 v17, 0x2ee0, v105
	v_dual_add_f32 v27, v84, v18 :: v_dual_add_nc_u32 v2, 0x2904, v105
	v_dual_add_f32 v42, v75, v42 :: v_dual_add_nc_u32 v111, 0x232c, v105
	v_fmamk_f32 v48, v45, 0xbf5db3d7, v23
	v_fmac_f32_e32 v23, 0x3f5db3d7, v45
	v_add_f32_e32 v45, v33, v47
	v_fmamk_f32 v47, v43, 0xbf5db3d7, v0
	v_fmac_f32_e32 v0, 0x3f5db3d7, v43
	ds_store_b32 v105, v14 offset:9000
	ds_store_2addr_b32 v111, v44, v25 offset1:1
	v_add_nc_u32_e32 v25, 0x34c0, v105
	v_lshl_add_u32 v86, v85, 2, 0
	v_add_f32_e32 v21, v74, v22
	v_add_f32_e32 v27, v56, v27
	ds_store_2addr_b32 v2, v40, v46 offset1:1
	ds_store_2addr_b32 v17, v42, v48 offset1:1
	ds_store_b32 v105, v19 offset:10508
	ds_store_b32 v105, v23 offset:12008
	;; [unrolled: 1-line block ×3, first 2 shown]
	ds_store_2addr_b32 v25, v47, v0 offset1:1
	v_add_f32_e32 v0, v66, v74
	v_add_nc_u32_e32 v87, 0xa00, v86
	v_dual_sub_f32 v23, v73, v65 :: v_dual_add_nc_u32 v90, 0x1600, v86
	v_dual_add_f32 v21, v66, v21 :: v_dual_add_nc_u32 v88, 0x2200, v86
	s_delay_alu instid0(VALU_DEP_4) | instskip(SKIP_2) | instid1(VALU_DEP_3)
	v_dual_fmac_f32 v22, -0.5, v0 :: v_dual_add_nc_u32 v89, 0x2e00, v86
	v_dual_sub_f32 v67, v81, v67 :: v_dual_add_nc_u32 v96, 0x600, v86
	v_add_f32_e32 v65, v56, v84
	v_dual_fmamk_f32 v29, v23, 0x3f5db3d7, v22 :: v_dual_add_f32 v66, v62, v30
	v_add_f32_e32 v56, v78, v62
	v_dual_add_f32 v62, v60, v28 :: v_dual_add_nc_u32 v91, 0x200, v86
	v_add_f32_e32 v60, v70, v60
	v_dual_sub_f32 v59, v59, v69 :: v_dual_add_nc_u32 v94, 0x1a00, v86
	v_add_nc_u32_e32 v93, 0x3200, v86
	v_dual_fmamk_f32 v0, v104, 0x3f5db3d7, v16 :: v_dual_add_f32 v73, v82, v26
	v_dual_add_f32 v69, v70, v62 :: v_dual_add_f32 v70, v80, v20
	v_add_nc_u32_e32 v95, 0x2600, v86
	v_add_nc_u32_e32 v98, 0x1e00, v86
	v_dual_fmac_f32 v18, -0.5, v65 :: v_dual_add_nc_u32 v99, 0x2a00, v86
	v_add_f32_e32 v62, v68, v82
	v_add_f32_e32 v68, v68, v73
	;; [unrolled: 1-line block ×3, first 2 shown]
	v_dual_add_f32 v65, v64, v70 :: v_dual_sub_f32 v70, v71, v75
	v_add_f32_e32 v64, v76, v72
	global_wb scope:SCOPE_SE
	s_wait_dscnt 0x0
	s_wait_kmcnt 0x0
	s_barrier_signal -1
	s_barrier_wait -1
	global_inv scope:SCOPE_SE
	ds_load_2addr_b32 v[12:13], v86 offset1:125
	ds_load_2addr_b32 v[47:48], v87 offset0:110 offset1:235
	ds_load_2addr_b32 v[45:46], v90 offset0:92 offset1:217
	;; [unrolled: 1-line block ×4, first 2 shown]
	v_dual_add_f32 v74, v72, v24 :: v_dual_add_nc_u32 v97, 0x1200, v86
	v_dual_fmac_f32 v16, 0xbf5db3d7, v104 :: v_dual_sub_f32 v31, v31, v33
	v_fmac_f32_e32 v22, 0xbf5db3d7, v23
	v_fmac_f32_e32 v28, -0.5, v60
	v_fmac_f32_e32 v24, -0.5, v64
	v_dual_add_f32 v23, v34, v32 :: v_dual_fmac_f32 v26, -0.5, v62
	v_dual_add_f32 v71, v76, v74 :: v_dual_and_b32 v64, 0xff, v85
	v_fmamk_f32 v72, v55, 0x3f5db3d7, v18
	v_fmac_f32_e32 v18, 0xbf5db3d7, v55
	s_delay_alu instid0(VALU_DEP_4) | instskip(NEXT) | instid1(VALU_DEP_4)
	v_dual_add_f32 v32, v32, v1 :: v_dual_fmac_f32 v1, -0.5, v23
	v_mul_lo_u16 v23, 0xab, v64
	v_add_nc_u32_e32 v55, 0x7d, v85
	v_fmamk_f32 v60, v59, 0x3f5db3d7, v28
	v_fmac_f32_e32 v28, 0xbf5db3d7, v59
	v_fmamk_f32 v59, v67, 0x3f5db3d7, v26
	v_fmac_f32_e32 v30, -0.5, v56
	v_dual_sub_f32 v61, v61, v77 :: v_dual_add_nc_u32 v92, 0xe00, v86
	v_dual_sub_f32 v63, v79, v63 :: v_dual_add_nc_u32 v100, 0x3600, v86
	v_dual_fmamk_f32 v19, v102, 0x3f5db3d7, v3 :: v_dual_fmac_f32 v20, -0.5, v73
	v_lshrrev_b16 v23, 9, v23
	v_add_f32_e32 v66, v78, v66
	v_fmamk_f32 v56, v61, 0x3f5db3d7, v30
	v_and_b32_e32 v62, 0xff, v55
	ds_load_2addr_b32 v[10:11], v91 offset0:122 offset1:247
	ds_load_2addr_b32 v[57:58], v92 offset0:104 offset1:229
	;; [unrolled: 1-line block ×10, first 2 shown]
	global_wb scope:SCOPE_SE
	s_wait_dscnt 0x0
	s_barrier_signal -1
	s_barrier_wait -1
	global_inv scope:SCOPE_SE
	v_fmac_f32_e32 v30, 0xbf5db3d7, v61
	v_fmamk_f32 v61, v63, 0x3f5db3d7, v20
	ds_store_2addr_b32 v106, v101, v19 offset1:1
	ds_store_2addr_b32 v107, v103, v0 offset1:1
	;; [unrolled: 1-line block ×4, first 2 shown]
	v_mul_lo_u16 v0, v23, 3
	v_mul_lo_u16 v19, 0xab, v62
	v_fmac_f32_e32 v3, 0xbf5db3d7, v102
	v_fmamk_f32 v33, v31, 0x3f5db3d7, v1
	v_fmac_f32_e32 v1, 0xbf5db3d7, v31
	v_sub_nc_u16 v0, v85, v0
	v_fmac_f32_e32 v26, 0xbf5db3d7, v67
	v_lshrrev_b16 v21, 9, v19
	v_fmac_f32_e32 v20, 0xbf5db3d7, v63
	ds_store_2addr_b32 v105, v27, v72 offset1:1
	ds_store_b32 v105, v18 offset:8
	ds_store_b32 v105, v3 offset:1508
	;; [unrolled: 1-line block ×6, first 2 shown]
	ds_store_2addr_b32 v110, v60, v28 offset1:1
	ds_store_b32 v105, v68 offset:9000
	v_and_b32_e32 v28, 0xff, v0
	v_fmamk_f32 v63, v70, 0x3f5db3d7, v24
	ds_store_2addr_b32 v111, v59, v26 offset1:1
	ds_store_2addr_b32 v2, v65, v61 offset1:1
	;; [unrolled: 1-line block ×3, first 2 shown]
	v_mul_lo_u16 v2, v21, 3
	v_add_nc_u32_e32 v59, 0x177, v85
	v_fmac_f32_e32 v24, 0xbf5db3d7, v70
	v_add_nc_u32_e32 v61, 0x271, v85
	v_cmp_gt_u32_e64 s0, 0x4b, v85
	v_sub_nc_u16 v0, v55, v2
	v_lshlrev_b32_e32 v2, 5, v28
	v_dual_add_f32 v32, v34, v32 :: v_dual_and_b32 v65, 0xffff, v59
	ds_store_b32 v105, v20 offset:10508
	ds_store_b32 v105, v24 offset:12008
	;; [unrolled: 1-line block ×3, first 2 shown]
	ds_store_2addr_b32 v25, v33, v1 offset1:1
	global_wb scope:SCOPE_SE
	s_wait_dscnt 0x0
	s_barrier_signal -1
	s_barrier_wait -1
	global_inv scope:SCOPE_SE
	s_clause 0x1
	global_load_b128 v[68:71], v2, s[8:9]
	global_load_b128 v[72:75], v2, s[8:9] offset:16
	v_add_nc_u32_e32 v56, 0xfa, v85
	v_and_b32_e32 v31, 0xff, v0
	v_and_b32_e32 v67, 0xffff, v61
	s_delay_alu instid0(VALU_DEP_3) | instskip(NEXT) | instid1(VALU_DEP_1)
	v_and_b32_e32 v63, 0xffff, v56
	v_mul_u32_u24_e32 v1, 0xaaab, v63
	s_delay_alu instid0(VALU_DEP_1) | instskip(SKIP_1) | instid1(VALU_DEP_2)
	v_lshrrev_b32_e32 v24, 17, v1
	v_mul_u32_u24_e32 v1, 0xaaab, v65
	v_mul_lo_u16 v0, v24, 3
	s_delay_alu instid0(VALU_DEP_2) | instskip(SKIP_1) | instid1(VALU_DEP_3)
	v_lshrrev_b32_e32 v20, 17, v1
	v_lshlrev_b32_e32 v1, 5, v31
	v_sub_nc_u16 v0, v56, v0
	s_delay_alu instid0(VALU_DEP_3)
	v_mul_lo_u16 v2, v20, 3
	s_clause 0x1
	global_load_b128 v[110:113], v1, s[8:9]
	global_load_b128 v[114:117], v1, s[8:9] offset:16
	v_add_nc_u32_e32 v60, 0x1f4, v85
	v_and_b32_e32 v27, 0xffff, v0
	v_sub_nc_u16 v2, v59, v2
	s_delay_alu instid0(VALU_DEP_3) | instskip(NEXT) | instid1(VALU_DEP_3)
	v_and_b32_e32 v66, 0xffff, v60
	v_lshlrev_b32_e32 v0, 5, v27
	s_delay_alu instid0(VALU_DEP_3)
	v_and_b32_e32 v26, 0xffff, v2
	s_clause 0x1
	global_load_b128 v[118:121], v0, s[8:9]
	global_load_b128 v[126:129], v0, s[8:9] offset:16
	v_mul_u32_u24_e32 v0, 0xaaab, v66
	v_lshlrev_b32_e32 v1, 5, v26
	s_delay_alu instid0(VALU_DEP_2)
	v_lshrrev_b32_e32 v30, 17, v0
	v_mul_u32_u24_e32 v0, 0xaaab, v67
	s_clause 0x1
	global_load_b128 v[122:125], v1, s[8:9]
	global_load_b128 v[130:133], v1, s[8:9] offset:16
	v_mul_lo_u16 v1, v30, 3
	v_lshrrev_b32_e32 v22, 17, v0
	s_delay_alu instid0(VALU_DEP_2) | instskip(NEXT) | instid1(VALU_DEP_2)
	v_sub_nc_u16 v0, v60, v1
	v_mul_lo_u16 v1, v22, 3
	s_delay_alu instid0(VALU_DEP_2) | instskip(NEXT) | instid1(VALU_DEP_2)
	v_and_b32_e32 v32, 0xffff, v0
	v_sub_nc_u16 v0, v61, v1
	s_delay_alu instid0(VALU_DEP_2) | instskip(NEXT) | instid1(VALU_DEP_2)
	v_lshlrev_b32_e32 v1, 5, v32
	v_and_b32_e32 v25, 0xffff, v0
	global_load_b128 v[134:137], v1, s[8:9]
	v_lshlrev_b32_e32 v0, 5, v25
	s_clause 0x2
	global_load_b128 v[138:141], v0, s[8:9]
	global_load_b128 v[142:145], v1, s[8:9] offset:16
	global_load_b128 v[0:3], v0, s[8:9] offset:16
	ds_load_2addr_b32 v[18:19], v87 offset0:110 offset1:235
	ds_load_2addr_b32 v[76:77], v90 offset0:92 offset1:217
	;; [unrolled: 1-line block ×11, first 2 shown]
	s_wait_loadcnt 0xb
	v_mul_f32_e32 v29, v47, v69
	s_wait_dscnt 0x9
	v_dual_mul_f32 v33, v18, v69 :: v_dual_mul_f32 v34, v76, v71
	s_wait_loadcnt_dscnt 0xa08
	v_dual_mul_f32 v69, v45, v71 :: v_dual_mul_f32 v108, v78, v73
	v_fma_f32 v104, v18, v68, -v29
	v_mul_f32_e32 v71, v43, v73
	v_mul_f32_e32 v73, v41, v75
	v_fmac_f32_e32 v34, v45, v70
	v_fma_f32 v105, v76, v70, -v69
	s_wait_dscnt 0x7
	v_mul_f32_e32 v109, v83, v75
	v_fmac_f32_e32 v108, v43, v72
	v_fma_f32 v107, v83, v74, -v73
	v_fma_f32 v106, v78, v72, -v71
	v_fmac_f32_e32 v33, v47, v68
	v_fmac_f32_e32 v109, v41, v74
	v_lshlrev_b32_e32 v31, 2, v31
	s_wait_loadcnt 0x9
	v_mul_f32_e32 v18, v48, v111
	v_dual_mul_f32 v81, v19, v111 :: v_dual_mul_f32 v80, v77, v113
	v_mul_f32_e32 v29, v46, v113
	s_wait_loadcnt 0x8
	v_mul_f32_e32 v83, v84, v117
	v_fma_f32 v102, v19, v110, -v18
	ds_load_2addr_b32 v[18:19], v100 offset0:44 offset1:169
	v_mul_f32_e32 v43, v42, v117
	v_fma_f32 v103, v77, v112, -v29
	v_mul_f32_e32 v82, v79, v115
	v_mul_f32_e32 v41, v44, v115
	v_fmac_f32_e32 v83, v42, v116
	v_fma_f32 v84, v84, v116, -v43
	s_wait_loadcnt 0x7
	v_mul_f32_e32 v47, v53, v121
	v_mul_f32_e32 v45, v57, v119
	s_wait_loadcnt_dscnt 0x605
	v_dual_mul_f32 v74, v150, v127 :: v_dual_mul_f32 v115, v49, v129
	v_dual_mul_f32 v72, v148, v121 :: v_dual_mul_f32 v113, v51, v127
	s_delay_alu instid0(VALU_DEP_3)
	v_fma_f32 v78, v146, v118, -v45
	s_wait_dscnt 0x4
	v_mul_f32_e32 v76, v152, v129
	s_wait_loadcnt 0x5
	v_dual_fmac_f32 v82, v44, v114 :: v_dual_mul_f32 v111, v54, v125
	s_wait_loadcnt 0x4
	v_mul_f32_e32 v70, v151, v131
	v_mul_f32_e32 v69, v147, v123
	v_dual_mul_f32 v117, v52, v131 :: v_dual_fmac_f32 v80, v46, v112
	s_delay_alu instid0(VALU_DEP_3) | instskip(SKIP_4) | instid1(VALU_DEP_3)
	v_dual_mul_f32 v75, v58, v123 :: v_dual_fmac_f32 v70, v52, v130
	v_mul_f32_e32 v68, v149, v125
	v_mul_f32_e32 v71, v153, v133
	v_dual_fmac_f32 v69, v58, v122 :: v_dual_fmac_f32 v76, v49, v128
	v_dual_fmac_f32 v74, v51, v126 :: v_dual_mul_f32 v73, v146, v119
	v_fmac_f32_e32 v71, v50, v132
	v_dual_mul_f32 v119, v50, v133 :: v_dual_fmac_f32 v72, v53, v120
	v_dual_fmac_f32 v81, v48, v110 :: v_dual_fmac_f32 v68, v54, v124
	v_fma_f32 v101, v79, v114, -v41
	v_fmac_f32_e32 v73, v57, v118
	v_fma_f32 v54, v149, v124, -v111
	v_fma_f32 v77, v150, v126, -v113
	;; [unrolled: 1-line block ×3, first 2 shown]
	s_wait_loadcnt_dscnt 0x303
	v_mul_f32_e32 v48, v154, v135
	s_wait_dscnt 0x2
	v_dual_mul_f32 v29, v39, v135 :: v_dual_mul_f32 v46, v156, v137
	v_mul_f32_e32 v41, v37, v137
	s_wait_loadcnt 0x2
	v_mul_f32_e32 v43, v155, v139
	v_fmac_f32_e32 v48, v39, v134
	v_fma_f32 v45, v154, v134, -v29
	v_dual_fmac_f32 v46, v37, v136 :: v_dual_mul_f32 v29, v40, v139
	s_delay_alu instid0(VALU_DEP_4) | instskip(SKIP_2) | instid1(VALU_DEP_3)
	v_dual_mul_f32 v42, v157, v141 :: v_dual_fmac_f32 v43, v40, v138
	s_wait_loadcnt_dscnt 0x100
	v_dual_mul_f32 v51, v16, v143 :: v_dual_mul_f32 v58, v18, v145
	v_fma_f32 v40, v155, v138, -v29
	s_delay_alu instid0(VALU_DEP_3) | instskip(SKIP_1) | instid1(VALU_DEP_3)
	v_dual_fmac_f32 v42, v38, v140 :: v_dual_mul_f32 v29, v35, v143
	s_wait_loadcnt 0x0
	v_dual_fmac_f32 v51, v35, v142 :: v_dual_mul_f32 v44, v17, v1
	v_mul_f32_e32 v35, v14, v145
	v_dual_mul_f32 v1, v36, v1 :: v_dual_fmac_f32 v58, v14, v144
	v_dual_add_f32 v14, v34, v108 :: v_dual_mul_f32 v113, v19, v3
	s_delay_alu instid0(VALU_DEP_4) | instskip(SKIP_1) | instid1(VALU_DEP_4)
	v_dual_mul_f32 v37, v38, v141 :: v_dual_fmac_f32 v44, v36, v0
	v_fma_f32 v49, v16, v142, -v29
	v_fma_f32 v111, v17, v0, -v1
	v_mul_f32_e32 v0, v15, v3
	v_fma_f32 v50, v18, v144, -v35
	v_dual_add_f32 v1, v12, v33 :: v_dual_and_b32 v18, 0xffff, v23
	v_fma_f32 v14, -0.5, v14, v12
	v_dual_sub_f32 v16, v104, v107 :: v_dual_sub_f32 v3, v33, v34
	v_dual_sub_f32 v17, v109, v108 :: v_dual_sub_f32 v36, v108, v109
	v_sub_f32_e32 v35, v105, v106
	s_delay_alu instid0(VALU_DEP_3) | instskip(SKIP_1) | instid1(VALU_DEP_4)
	v_fmamk_f32 v23, v16, 0xbf737871, v14
	v_mul_u32_u24_e32 v18, 60, v18
	v_dual_fmac_f32 v14, 0x3f737871, v16 :: v_dual_add_f32 v17, v3, v17
	v_lshlrev_b32_e32 v3, 2, v28
	v_fma_f32 v112, v19, v2, -v0
	v_sub_f32_e32 v19, v34, v33
	v_add_f32_e32 v1, v1, v34
	v_fma_f32 v47, v156, v136, -v41
	v_add3_u32 v110, 0, v18, v3
	v_add_f32_e32 v18, v33, v109
	v_fma_f32 v41, v157, v140, -v37
	v_dual_sub_f32 v37, v80, v81 :: v_dual_sub_f32 v38, v82, v83
	v_fmac_f32_e32 v23, 0xbf167918, v35
	s_delay_alu instid0(VALU_DEP_4)
	v_fma_f32 v12, -0.5, v18, v12
	v_add_f32_e32 v18, v19, v36
	v_add_f32_e32 v1, v1, v108
	v_fmac_f32_e32 v113, v15, v2
	v_fmac_f32_e32 v23, 0x3e9e377a, v17
	;; [unrolled: 1-line block ×3, first 2 shown]
	v_fma_f32 v57, v147, v122, -v75
	v_add_f32_e32 v15, v1, v109
	ds_load_2addr_b32 v[28:29], v86 offset1:125
	ds_load_2addr_b32 v[2:3], v91 offset0:122 offset1:247
	ds_load_2addr_b32 v[0:1], v96 offset0:116 offset1:241
	global_wb scope:SCOPE_SE
	s_wait_dscnt 0x0
	s_barrier_signal -1
	s_barrier_wait -1
	global_inv scope:SCOPE_SE
	ds_store_2addr_b32 v110, v15, v23 offset1:3
	v_fmamk_f32 v23, v35, 0x3f737871, v12
	v_dual_fmac_f32 v12, 0xbf737871, v35 :: v_dual_add_f32 v15, v80, v82
	v_fmac_f32_e32 v14, 0x3e9e377a, v17
	v_and_b32_e32 v17, 0xffff, v21
	v_fma_f32 v75, v152, v128, -v115
	v_add_f32_e32 v36, v13, v81
	v_fma_f32 v15, -0.5, v15, v13
	v_sub_f32_e32 v115, v102, v84
	v_mul_u32_u24_e32 v17, 60, v17
	v_dual_add_f32 v19, v81, v83 :: v_dual_fmac_f32 v12, 0x3f167918, v16
	v_sub_f32_e32 v35, v83, v82
	v_fma_f32 v52, v151, v130, -v117
	s_delay_alu instid0(VALU_DEP_4)
	v_add3_u32 v114, 0, v17, v31
	v_sub_f32_e32 v17, v78, v75
	v_dual_add_f32 v21, v36, v80 :: v_dual_fmamk_f32 v36, v115, 0xbf737871, v15
	v_fmac_f32_e32 v23, 0xbf167918, v16
	v_fmac_f32_e32 v12, 0x3e9e377a, v18
	v_add_f32_e32 v16, v37, v38
	s_delay_alu instid0(VALU_DEP_4) | instskip(SKIP_4) | instid1(VALU_DEP_3)
	v_add_f32_e32 v21, v21, v82
	v_fma_f32 v53, v153, v132, -v119
	v_dual_fmac_f32 v23, 0x3e9e377a, v18 :: v_dual_sub_f32 v18, v81, v80
	v_dual_sub_f32 v108, v34, v108 :: v_dual_sub_f32 v109, v33, v109
	v_dual_sub_f32 v80, v80, v82 :: v_dual_sub_f32 v81, v81, v83
	v_add_f32_e32 v18, v18, v35
	v_fmac_f32_e32 v13, -0.5, v19
	v_sub_f32_e32 v19, v103, v101
	s_delay_alu instid0(VALU_DEP_1) | instskip(NEXT) | instid1(VALU_DEP_1)
	v_dual_sub_f32 v35, v57, v53 :: v_dual_fmac_f32 v36, 0xbf167918, v19
	v_fmac_f32_e32 v36, 0x3e9e377a, v18
	s_delay_alu instid0(VALU_DEP_4) | instskip(SKIP_1) | instid1(VALU_DEP_2)
	v_fmamk_f32 v39, v19, 0x3f737871, v13
	v_fmac_f32_e32 v13, 0xbf737871, v19
	v_fmac_f32_e32 v39, 0xbf167918, v115
	s_delay_alu instid0(VALU_DEP_2) | instskip(NEXT) | instid1(VALU_DEP_2)
	v_fmac_f32_e32 v13, 0x3f167918, v115
	v_fmac_f32_e32 v39, 0x3e9e377a, v16
	s_delay_alu instid0(VALU_DEP_2)
	v_dual_fmac_f32 v13, 0x3e9e377a, v16 :: v_dual_add_f32 v16, v21, v83
	ds_store_2addr_b32 v110, v23, v12 offset0:6 offset1:9
	ds_store_b32 v110, v14 offset:48
	ds_store_2addr_b32 v114, v39, v13 offset0:6 offset1:9
	v_dual_add_f32 v12, v72, v74 :: v_dual_add_f32 v23, v73, v76
	ds_store_2addr_b32 v114, v16, v36 offset1:3
	v_dual_sub_f32 v13, v73, v72 :: v_dual_sub_f32 v14, v76, v74
	v_dual_fmac_f32 v15, 0x3f737871, v115 :: v_dual_add_f32 v16, v10, v73
	v_fma_f32 v12, -0.5, v12, v10
	v_fma_f32 v10, -0.5, v23, v10
	v_add_f32_e32 v23, v68, v70
	s_delay_alu instid0(VALU_DEP_4) | instskip(SKIP_2) | instid1(VALU_DEP_4)
	v_dual_add_f32 v13, v13, v14 :: v_dual_add_f32 v16, v16, v72
	v_sub_f32_e32 v21, v79, v77
	v_fmac_f32_e32 v15, 0x3f167918, v19
	v_fma_f32 v23, -0.5, v23, v11
	v_fmamk_f32 v19, v17, 0xbf737871, v12
	v_fmac_f32_e32 v12, 0x3f737871, v17
	v_lshlrev_b32_e32 v14, 2, v27
	v_dual_add_f32 v16, v16, v74 :: v_dual_sub_f32 v27, v70, v71
	s_delay_alu instid0(VALU_DEP_3) | instskip(SKIP_3) | instid1(VALU_DEP_4)
	v_dual_sub_f32 v83, v102, v103 :: v_dual_fmac_f32 v12, 0x3f167918, v21
	v_fmac_f32_e32 v15, 0x3e9e377a, v18
	v_mul_u32_u24_e32 v18, 60, v24
	v_add_f32_e32 v24, v11, v69
	v_fmac_f32_e32 v12, 0x3e9e377a, v13
	ds_store_b32 v114, v15 offset:48
	v_add3_u32 v115, 0, v18, v14
	v_add_f32_e32 v14, v16, v76
	v_dual_sub_f32 v15, v72, v73 :: v_dual_sub_f32 v16, v74, v76
	v_fmamk_f32 v18, v21, 0x3f737871, v10
	v_fmac_f32_e32 v10, 0xbf737871, v21
	v_dual_sub_f32 v72, v72, v74 :: v_dual_sub_f32 v73, v73, v76
	s_delay_alu instid0(VALU_DEP_4) | instskip(NEXT) | instid1(VALU_DEP_3)
	v_dual_add_f32 v15, v15, v16 :: v_dual_add_f32 v16, v69, v71
	v_fmac_f32_e32 v10, 0x3f167918, v17
	v_fmac_f32_e32 v18, 0xbf167918, v17
	v_dual_sub_f32 v17, v68, v69 :: v_dual_sub_f32 v76, v78, v79
	s_delay_alu instid0(VALU_DEP_3) | instskip(SKIP_1) | instid1(VALU_DEP_1)
	v_dual_fmac_f32 v11, -0.5, v16 :: v_dual_fmac_f32 v10, 0x3e9e377a, v15
	v_dual_fmac_f32 v19, 0xbf167918, v21 :: v_dual_sub_f32 v16, v54, v52
	v_dual_fmac_f32 v18, 0x3e9e377a, v15 :: v_dual_fmac_f32 v19, 0x3e9e377a, v13
	s_delay_alu instid0(VALU_DEP_2)
	v_fmamk_f32 v31, v16, 0x3f737871, v11
	ds_store_2addr_b32 v115, v14, v19 offset1:3
	ds_store_2addr_b32 v115, v18, v10 offset0:6 offset1:9
	v_fmamk_f32 v18, v35, 0xbf737871, v23
	v_fmac_f32_e32 v23, 0x3f737871, v35
	v_sub_f32_e32 v19, v51, v58
	v_dual_fmac_f32 v11, 0xbf737871, v16 :: v_dual_lshlrev_b32 v10, 2, v26
	s_delay_alu instid0(VALU_DEP_4) | instskip(NEXT) | instid1(VALU_DEP_4)
	v_fmac_f32_e32 v18, 0xbf167918, v16
	v_dual_fmac_f32 v23, 0x3f167918, v16 :: v_dual_sub_f32 v16, v47, v49
	v_add_f32_e32 v15, v17, v27
	v_fmac_f32_e32 v31, 0xbf167918, v35
	v_fmac_f32_e32 v11, 0x3f167918, v35
	v_mul_u32_u24_e32 v13, 60, v20
	v_sub_f32_e32 v20, v40, v112
	s_delay_alu instid0(VALU_DEP_4) | instskip(NEXT) | instid1(VALU_DEP_4)
	v_dual_sub_f32 v14, v69, v68 :: v_dual_fmac_f32 v31, 0x3e9e377a, v15
	v_fmac_f32_e32 v11, 0x3e9e377a, v15
	v_sub_f32_e32 v15, v71, v70
	v_add3_u32 v116, 0, v13, v10
	ds_store_b32 v115, v12 offset:48
	v_add_f32_e32 v12, v46, v51
	v_sub_f32_e32 v69, v69, v71
	v_dual_add_f32 v10, v14, v15 :: v_dual_sub_f32 v15, v45, v50
	v_add_f32_e32 v17, v24, v68
	s_delay_alu instid0(VALU_DEP_4) | instskip(SKIP_4) | instid1(VALU_DEP_2)
	v_fma_f32 v12, -0.5, v12, v8
	ds_store_2addr_b32 v116, v31, v11 offset0:6 offset1:9
	v_fmac_f32_e32 v18, 0x3e9e377a, v10
	v_dual_add_f32 v14, v8, v48 :: v_dual_add_f32 v13, v17, v70
	v_lshlrev_b32_e32 v17, 2, v32
	v_add_f32_e32 v11, v13, v71
	v_sub_f32_e32 v13, v58, v51
	v_sub_f32_e32 v71, v57, v54
	ds_store_2addr_b32 v116, v11, v18 offset1:3
	v_add_f32_e32 v11, v14, v46
	v_add_f32_e32 v14, v48, v58
	v_mul_u32_u24_e32 v18, 60, v30
	s_delay_alu instid0(VALU_DEP_3) | instskip(NEXT) | instid1(VALU_DEP_3)
	v_add_f32_e32 v11, v11, v51
	v_fma_f32 v8, -0.5, v14, v8
	v_sub_f32_e32 v14, v46, v48
	s_delay_alu instid0(VALU_DEP_4) | instskip(NEXT) | instid1(VALU_DEP_3)
	v_add3_u32 v117, 0, v18, v17
	v_dual_add_f32 v18, v42, v44 :: v_dual_fmamk_f32 v17, v16, 0x3f737871, v8
	v_fmac_f32_e32 v8, 0xbf737871, v16
	s_delay_alu instid0(VALU_DEP_4) | instskip(NEXT) | instid1(VALU_DEP_3)
	v_add_f32_e32 v14, v14, v19
	v_fmac_f32_e32 v17, 0xbf167918, v15
	s_delay_alu instid0(VALU_DEP_3) | instskip(NEXT) | instid1(VALU_DEP_2)
	v_fmac_f32_e32 v8, 0x3f167918, v15
	v_fmac_f32_e32 v17, 0x3e9e377a, v14
	s_delay_alu instid0(VALU_DEP_2)
	v_fmac_f32_e32 v8, 0x3e9e377a, v14
	v_dual_sub_f32 v14, v42, v43 :: v_dual_fmac_f32 v23, 0x3e9e377a, v10
	v_sub_f32_e32 v10, v48, v46
	v_sub_f32_e32 v48, v48, v58
	;; [unrolled: 1-line block ×3, first 2 shown]
	ds_store_b32 v116, v23 offset:48
	v_dual_add_f32 v10, v10, v13 :: v_dual_fmamk_f32 v13, v15, 0xbf737871, v12
	v_dual_fmac_f32 v12, 0x3f737871, v15 :: v_dual_sub_f32 v15, v44, v113
	ds_store_2addr_b32 v117, v17, v8 offset0:6 offset1:9
	v_fmac_f32_e32 v13, 0xbf167918, v16
	v_fmac_f32_e32 v12, 0x3f167918, v16
	v_add_f32_e32 v8, v14, v15
	v_mul_u32_u24_e32 v14, 60, v22
	s_delay_alu instid0(VALU_DEP_4) | instskip(NEXT) | instid1(VALU_DEP_4)
	v_fmac_f32_e32 v13, 0x3e9e377a, v10
	v_fmac_f32_e32 v12, 0x3e9e377a, v10
	v_lshlrev_b32_e32 v10, 2, v25
	ds_store_b32 v117, v12 offset:48
	v_add3_u32 v118, 0, v14, v10
	v_dual_sub_f32 v14, v113, v44 :: v_dual_add_f32 v11, v11, v58
	v_add_f32_e32 v10, v105, v106
	v_sub_f32_e32 v12, v43, v42
	v_add_f32_e32 v58, v0, v45
	ds_store_2addr_b32 v117, v11, v13 offset1:3
	v_add_f32_e32 v11, v43, v113
	v_fma_f32 v13, -0.5, v18, v9
	v_add_f32_e32 v18, v9, v43
	v_fma_f32 v120, -0.5, v10, v28
	v_sub_f32_e32 v15, v107, v106
	v_fmac_f32_e32 v9, -0.5, v11
	v_dual_sub_f32 v11, v41, v111 :: v_dual_add_f32 v12, v12, v14
	s_delay_alu instid0(VALU_DEP_4) | instskip(SKIP_1) | instid1(VALU_DEP_3)
	v_fmamk_f32 v121, v109, 0x3f737871, v120
	v_fmac_f32_e32 v120, 0xbf737871, v109
	v_dual_add_f32 v10, v18, v42 :: v_dual_fmamk_f32 v19, v11, 0x3f737871, v9
	v_fmac_f32_e32 v9, 0xbf737871, v11
	s_delay_alu instid0(VALU_DEP_4) | instskip(NEXT) | instid1(VALU_DEP_4)
	v_fmac_f32_e32 v121, 0x3f167918, v108
	v_fmac_f32_e32 v120, 0xbf167918, v108
	s_delay_alu instid0(VALU_DEP_4) | instskip(SKIP_3) | instid1(VALU_DEP_3)
	v_add_f32_e32 v10, v10, v44
	v_fmac_f32_e32 v19, 0xbf167918, v20
	v_fmac_f32_e32 v9, 0x3f167918, v20
	v_sub_f32_e32 v43, v43, v113
	v_dual_add_f32 v10, v10, v113 :: v_dual_fmac_f32 v19, 0x3e9e377a, v8
	s_delay_alu instid0(VALU_DEP_3) | instskip(NEXT) | instid1(VALU_DEP_1)
	v_dual_fmac_f32 v9, 0x3e9e377a, v8 :: v_dual_sub_f32 v8, v104, v105
	v_add_f32_e32 v119, v8, v15
	v_add_f32_e32 v15, v28, v104
	v_fmamk_f32 v8, v20, 0xbf737871, v13
	s_delay_alu instid0(VALU_DEP_2) | instskip(NEXT) | instid1(VALU_DEP_2)
	v_dual_fmac_f32 v13, 0x3f737871, v20 :: v_dual_add_f32 v14, v15, v105
	v_fmac_f32_e32 v8, 0xbf167918, v11
	s_delay_alu instid0(VALU_DEP_2) | instskip(NEXT) | instid1(VALU_DEP_3)
	v_fmac_f32_e32 v13, 0x3f167918, v11
	v_dual_add_f32 v11, v14, v106 :: v_dual_add_f32 v14, v104, v107
	v_dual_sub_f32 v104, v105, v104 :: v_dual_sub_f32 v105, v106, v107
	s_delay_alu instid0(VALU_DEP_4) | instskip(NEXT) | instid1(VALU_DEP_3)
	v_fmac_f32_e32 v8, 0x3e9e377a, v12
	v_add_f32_e32 v122, v11, v107
	s_delay_alu instid0(VALU_DEP_4) | instskip(NEXT) | instid1(VALU_DEP_4)
	v_fma_f32 v28, -0.5, v14, v28
	v_dual_add_f32 v104, v104, v105 :: v_dual_add_f32 v105, v102, v84
	s_delay_alu instid0(VALU_DEP_2) | instskip(SKIP_1) | instid1(VALU_DEP_2)
	v_fmamk_f32 v106, v108, 0xbf737871, v28
	v_fmac_f32_e32 v28, 0x3f737871, v108
	v_fmac_f32_e32 v106, 0x3f167918, v109
	s_delay_alu instid0(VALU_DEP_1) | instskip(NEXT) | instid1(VALU_DEP_3)
	v_fmac_f32_e32 v106, 0x3e9e377a, v104
	v_fmac_f32_e32 v28, 0xbf167918, v109
	s_delay_alu instid0(VALU_DEP_1)
	v_fmac_f32_e32 v28, 0x3e9e377a, v104
	v_sub_f32_e32 v104, v84, v101
	v_fmac_f32_e32 v120, 0x3e9e377a, v119
	ds_store_2addr_b32 v118, v19, v9 offset0:6 offset1:9
	v_dual_add_f32 v82, v83, v104 :: v_dual_fmac_f32 v121, 0x3e9e377a, v119
	v_fmac_f32_e32 v13, 0x3e9e377a, v12
	ds_store_2addr_b32 v118, v10, v8 offset1:3
	ds_store_b32 v118, v13 offset:48
	global_wb scope:SCOPE_SE
	s_wait_dscnt 0x0
	s_barrier_signal -1
	s_barrier_wait -1
	global_inv scope:SCOPE_SE
	ds_load_2addr_b32 v[10:11], v86 offset1:125
	ds_load_2addr_b32 v[38:39], v87 offset0:110 offset1:235
	ds_load_2addr_b32 v[36:37], v90 offset0:92 offset1:217
	ds_load_2addr_b32 v[34:35], v88 offset0:74 offset1:199
	ds_load_2addr_b32 v[32:33], v89 offset0:56 offset1:181
	ds_load_2addr_b32 v[8:9], v91 offset0:122 offset1:247
	ds_load_2addr_b32 v[24:25], v92 offset0:104 offset1:229
	ds_load_2addr_b32 v[30:31], v94 offset0:86 offset1:211
	ds_load_2addr_b32 v[26:27], v95 offset0:68 offset1:193
	ds_load_2addr_b32 v[22:23], v93 offset0:50 offset1:175
	ds_load_2addr_b32 v[12:13], v96 offset0:116 offset1:241
	ds_load_2addr_b32 v[20:21], v97 offset0:98 offset1:223
	ds_load_2addr_b32 v[18:19], v98 offset0:80 offset1:205
	ds_load_2addr_b32 v[16:17], v99 offset0:62 offset1:187
	ds_load_2addr_b32 v[14:15], v100 offset0:44 offset1:169
	global_wb scope:SCOPE_SE
	s_wait_dscnt 0x0
	s_barrier_signal -1
	s_barrier_wait -1
	global_inv scope:SCOPE_SE
	ds_store_2addr_b32 v110, v122, v121 offset1:3
	ds_store_2addr_b32 v110, v106, v28 offset0:6 offset1:9
	v_add_f32_e32 v28, v103, v101
	v_add_f32_e32 v106, v29, v102
	v_sub_f32_e32 v102, v103, v102
	s_delay_alu instid0(VALU_DEP_3) | instskip(NEXT) | instid1(VALU_DEP_3)
	v_fma_f32 v28, -0.5, v28, v29
	v_dual_fmac_f32 v29, -0.5, v105 :: v_dual_add_f32 v104, v106, v103
	v_sub_f32_e32 v103, v101, v84
	s_delay_alu instid0(VALU_DEP_3) | instskip(NEXT) | instid1(VALU_DEP_3)
	v_fmamk_f32 v83, v81, 0x3f737871, v28
	v_dual_fmac_f32 v28, 0xbf737871, v81 :: v_dual_fmamk_f32 v105, v80, 0xbf737871, v29
	v_fmac_f32_e32 v29, 0x3f737871, v80
	v_add_f32_e32 v101, v104, v101
	s_delay_alu instid0(VALU_DEP_4) | instskip(NEXT) | instid1(VALU_DEP_4)
	v_fmac_f32_e32 v83, 0x3f167918, v80
	v_fmac_f32_e32 v28, 0xbf167918, v80
	v_dual_add_f32 v80, v102, v103 :: v_dual_fmac_f32 v105, 0x3f167918, v81
	v_fmac_f32_e32 v29, 0xbf167918, v81
	s_delay_alu instid0(VALU_DEP_3)
	v_dual_add_f32 v81, v101, v84 :: v_dual_fmac_f32 v28, 0x3e9e377a, v82
	v_add_f32_e32 v84, v2, v78
	v_dual_add_f32 v101, v78, v75 :: v_dual_sub_f32 v78, v79, v78
	v_dual_fmac_f32 v83, 0x3e9e377a, v82 :: v_dual_add_f32 v82, v79, v77
	v_fmac_f32_e32 v105, 0x3e9e377a, v80
	v_dual_fmac_f32 v29, 0x3e9e377a, v80 :: v_dual_sub_f32 v80, v75, v77
	s_delay_alu instid0(VALU_DEP_3) | instskip(SKIP_1) | instid1(VALU_DEP_3)
	v_fma_f32 v82, -0.5, v82, v2
	v_fma_f32 v2, -0.5, v101, v2
	v_add_f32_e32 v74, v76, v80
	v_add_f32_e32 v80, v84, v79
	s_delay_alu instid0(VALU_DEP_3) | instskip(SKIP_3) | instid1(VALU_DEP_4)
	v_fmamk_f32 v84, v72, 0xbf737871, v2
	v_fmamk_f32 v76, v73, 0x3f737871, v82
	v_dual_fmac_f32 v82, 0xbf737871, v73 :: v_dual_sub_f32 v79, v77, v75
	v_fmac_f32_e32 v2, 0x3f737871, v72
	v_fmac_f32_e32 v84, 0x3f167918, v73
	s_delay_alu instid0(VALU_DEP_4) | instskip(NEXT) | instid1(VALU_DEP_4)
	v_fmac_f32_e32 v76, 0x3f167918, v72
	v_fmac_f32_e32 v82, 0xbf167918, v72
	v_dual_add_f32 v72, v78, v79 :: v_dual_add_f32 v77, v80, v77
	v_fmac_f32_e32 v2, 0xbf167918, v73
	s_delay_alu instid0(VALU_DEP_4) | instskip(NEXT) | instid1(VALU_DEP_4)
	v_fmac_f32_e32 v76, 0x3e9e377a, v74
	v_fmac_f32_e32 v82, 0x3e9e377a, v74
	s_delay_alu instid0(VALU_DEP_4) | instskip(SKIP_3) | instid1(VALU_DEP_3)
	v_dual_fmac_f32 v84, 0x3e9e377a, v72 :: v_dual_add_f32 v73, v77, v75
	v_add_f32_e32 v74, v54, v52
	v_dual_fmac_f32 v2, 0x3e9e377a, v72 :: v_dual_add_f32 v75, v57, v53
	v_dual_sub_f32 v72, v53, v52 :: v_dual_add_f32 v77, v3, v57
	v_fma_f32 v74, -0.5, v74, v3
	s_delay_alu instid0(VALU_DEP_3) | instskip(NEXT) | instid1(VALU_DEP_3)
	v_dual_sub_f32 v68, v68, v70 :: v_dual_fmac_f32 v3, -0.5, v75
	v_add_f32_e32 v70, v71, v72
	ds_store_b32 v110, v120 offset:48
	ds_store_2addr_b32 v114, v81, v83 offset1:3
	ds_store_2addr_b32 v114, v105, v29 offset0:6 offset1:9
	ds_store_b32 v114, v28 offset:48
	v_fmamk_f32 v71, v69, 0x3f737871, v74
	v_add_f32_e32 v72, v77, v54
	v_dual_sub_f32 v54, v54, v57 :: v_dual_fmamk_f32 v75, v68, 0xbf737871, v3
	v_fmac_f32_e32 v74, 0xbf737871, v69
	v_sub_f32_e32 v57, v52, v53
	v_fmac_f32_e32 v3, 0x3f737871, v68
	v_fmac_f32_e32 v71, 0x3f167918, v68
	v_dual_add_f32 v52, v72, v52 :: v_dual_fmac_f32 v75, 0x3f167918, v69
	s_delay_alu instid0(VALU_DEP_4) | instskip(NEXT) | instid1(VALU_DEP_4)
	v_add_f32_e32 v54, v54, v57
	v_fmac_f32_e32 v3, 0xbf167918, v69
	v_sub_f32_e32 v57, v50, v49
	s_delay_alu instid0(VALU_DEP_4) | instskip(NEXT) | instid1(VALU_DEP_4)
	v_dual_add_f32 v52, v52, v53 :: v_dual_fmac_f32 v71, 0x3e9e377a, v70
	v_fmac_f32_e32 v75, 0x3e9e377a, v54
	s_delay_alu instid0(VALU_DEP_4)
	v_dual_fmac_f32 v3, 0x3e9e377a, v54 :: v_dual_sub_f32 v54, v45, v47
	v_add_f32_e32 v53, v47, v49
	ds_store_2addr_b32 v115, v73, v76 offset1:3
	ds_store_2addr_b32 v115, v84, v2 offset0:6 offset1:9
	ds_store_b32 v115, v82 offset:48
	ds_store_2addr_b32 v116, v52, v71 offset1:3
	v_add_f32_e32 v51, v54, v57
	v_dual_add_f32 v57, v58, v47 :: v_dual_fmac_f32 v74, 0xbf167918, v68
	v_dual_add_f32 v68, v45, v50 :: v_dual_sub_f32 v45, v47, v45
	v_fma_f32 v53, -0.5, v53, v0
	s_delay_alu instid0(VALU_DEP_3) | instskip(NEXT) | instid1(VALU_DEP_3)
	v_fmac_f32_e32 v74, 0x3e9e377a, v70
	v_fma_f32 v0, -0.5, v68, v0
	s_delay_alu instid0(VALU_DEP_3) | instskip(SKIP_1) | instid1(VALU_DEP_3)
	v_dual_sub_f32 v47, v49, v50 :: v_dual_fmamk_f32 v54, v48, 0x3f737871, v53
	v_fmac_f32_e32 v53, 0xbf737871, v48
	v_dual_add_f32 v49, v57, v49 :: v_dual_fmamk_f32 v58, v46, 0xbf737871, v0
	s_delay_alu instid0(VALU_DEP_3) | instskip(NEXT) | instid1(VALU_DEP_4)
	v_dual_fmac_f32 v0, 0x3f737871, v46 :: v_dual_add_f32 v45, v45, v47
	v_fmac_f32_e32 v54, 0x3f167918, v46
	s_delay_alu instid0(VALU_DEP_4) | instskip(NEXT) | instid1(VALU_DEP_4)
	v_fmac_f32_e32 v53, 0xbf167918, v46
	v_dual_fmac_f32 v58, 0x3f167918, v48 :: v_dual_add_f32 v47, v41, v111
	s_delay_alu instid0(VALU_DEP_4) | instskip(NEXT) | instid1(VALU_DEP_3)
	v_fmac_f32_e32 v0, 0xbf167918, v48
	v_dual_add_f32 v46, v49, v50 :: v_dual_fmac_f32 v53, 0x3e9e377a, v51
	s_delay_alu instid0(VALU_DEP_3) | instskip(NEXT) | instid1(VALU_DEP_3)
	v_dual_fmac_f32 v58, 0x3e9e377a, v45 :: v_dual_add_f32 v49, v40, v112
	v_fmac_f32_e32 v0, 0x3e9e377a, v45
	v_dual_sub_f32 v45, v40, v41 :: v_dual_add_f32 v50, v1, v40
	v_sub_f32_e32 v48, v112, v111
	v_fma_f32 v47, -0.5, v47, v1
	v_dual_sub_f32 v42, v42, v44 :: v_dual_fmac_f32 v1, -0.5, v49
	v_fmac_f32_e32 v54, 0x3e9e377a, v51
	s_delay_alu instid0(VALU_DEP_3) | instskip(SKIP_3) | instid1(VALU_DEP_4)
	v_dual_add_f32 v44, v45, v48 :: v_dual_fmamk_f32 v45, v43, 0x3f737871, v47
	v_dual_add_f32 v48, v50, v41 :: v_dual_fmac_f32 v47, 0xbf737871, v43
	v_sub_f32_e32 v40, v41, v40
	v_sub_f32_e32 v41, v111, v112
	v_fmac_f32_e32 v45, 0x3f167918, v42
	s_delay_alu instid0(VALU_DEP_4) | instskip(NEXT) | instid1(VALU_DEP_3)
	v_dual_fmamk_f32 v49, v42, 0xbf737871, v1 :: v_dual_add_f32 v48, v48, v111
	v_dual_fmac_f32 v1, 0x3f737871, v42 :: v_dual_add_f32 v40, v40, v41
	v_fmac_f32_e32 v47, 0xbf167918, v42
	v_mul_lo_u16 v42, 0x89, v64
	s_delay_alu instid0(VALU_DEP_4)
	v_add_f32_e32 v41, v48, v112
	v_fmac_f32_e32 v49, 0x3f167918, v43
	v_fmac_f32_e32 v1, 0xbf167918, v43
	ds_store_2addr_b32 v116, v75, v3 offset0:6 offset1:9
	ds_store_b32 v116, v74 offset:48
	ds_store_2addr_b32 v117, v46, v54 offset1:3
	v_lshrrev_b16 v48, 11, v42
	v_mul_lo_u16 v3, 0x89, v62
	v_fmac_f32_e32 v49, 0x3e9e377a, v40
	v_fmac_f32_e32 v1, 0x3e9e377a, v40
	;; [unrolled: 1-line block ×3, first 2 shown]
	v_mul_lo_u16 v28, v48, 15
	v_lshrrev_b16 v46, 11, v3
	ds_store_2addr_b32 v117, v58, v0 offset0:6 offset1:9
	v_sub_nc_u16 v2, v85, v28
	s_delay_alu instid0(VALU_DEP_1)
	v_and_b32_e32 v52, 0xff, v2
	ds_store_b32 v117, v53 offset:48
	ds_store_2addr_b32 v118, v41, v45 offset1:3
	v_mul_u32_u24_e32 v2, 0x8889, v63
	v_lshlrev_b32_e32 v0, 5, v52
	v_fmac_f32_e32 v47, 0x3e9e377a, v44
	ds_store_2addr_b32 v118, v49, v1 offset0:6 offset1:9
	ds_store_b32 v118, v47 offset:48
	v_mul_lo_u16 v1, v46, 15
	global_wb scope:SCOPE_SE
	s_wait_dscnt 0x0
	s_barrier_signal -1
	s_barrier_wait -1
	global_inv scope:SCOPE_SE
	v_sub_nc_u16 v1, v55, v1
	s_clause 0x1
	global_load_b128 v[68:71], v0, s[8:9] offset:96
	global_load_b128 v[72:75], v0, s[8:9] offset:112
	v_lshrrev_b32_e32 v28, 19, v2
	v_and_b32_e32 v47, 0xff, v1
	v_mul_u32_u24_e32 v1, 0x8889, v65
	s_delay_alu instid0(VALU_DEP_3) | instskip(SKIP_1) | instid1(VALU_DEP_4)
	v_mul_lo_u16 v2, v28, 15
	v_mul_u32_u24_e32 v28, 0x12c, v28
	v_lshlrev_b32_e32 v0, 5, v47
	s_delay_alu instid0(VALU_DEP_4) | instskip(NEXT) | instid1(VALU_DEP_4)
	v_lshrrev_b32_e32 v29, 19, v1
	v_sub_nc_u16 v1, v56, v2
	v_mul_u32_u24_e32 v2, 0x8889, v66
	s_clause 0x1
	global_load_b128 v[101:104], v0, s[8:9] offset:96
	global_load_b128 v[105:108], v0, s[8:9] offset:112
	v_mul_lo_u16 v0, v29, 15
	v_and_b32_e32 v41, 0xffff, v1
	v_lshrrev_b32_e32 v42, 19, v2
	v_mul_u32_u24_e32 v2, 0x8889, v67
	s_delay_alu instid0(VALU_DEP_4) | instskip(NEXT) | instid1(VALU_DEP_4)
	v_sub_nc_u16 v0, v59, v0
	v_lshlrev_b32_e32 v1, 5, v41
	s_delay_alu instid0(VALU_DEP_4) | instskip(NEXT) | instid1(VALU_DEP_4)
	v_mul_lo_u16 v3, v42, 15
	v_lshrrev_b32_e32 v43, 19, v2
	s_delay_alu instid0(VALU_DEP_4)
	v_and_b32_e32 v40, 0xffff, v0
	s_clause 0x1
	global_load_b128 v[109:112], v1, s[8:9] offset:96
	global_load_b128 v[117:120], v1, s[8:9] offset:112
	v_sub_nc_u16 v1, v60, v3
	v_mul_lo_u16 v2, v43, 15
	v_lshlrev_b32_e32 v0, 5, v40
	s_delay_alu instid0(VALU_DEP_3)
	v_and_b32_e32 v44, 0xffff, v1
	s_clause 0x1
	global_load_b128 v[113:116], v0, s[8:9] offset:96
	global_load_b128 v[121:124], v0, s[8:9] offset:112
	v_sub_nc_u16 v0, v61, v2
	v_lshlrev_b32_e32 v1, 5, v44
	s_delay_alu instid0(VALU_DEP_2)
	v_and_b32_e32 v45, 0xffff, v0
	global_load_b128 v[125:128], v1, s[8:9] offset:96
	v_lshlrev_b32_e32 v0, 5, v45
	s_clause 0x2
	global_load_b128 v[129:132], v0, s[8:9] offset:96
	global_load_b128 v[133:136], v1, s[8:9] offset:112
	global_load_b128 v[0:3], v0, s[8:9] offset:112
	ds_load_2addr_b32 v[49:50], v87 offset0:110 offset1:235
	ds_load_2addr_b32 v[53:54], v90 offset0:92 offset1:217
	;; [unrolled: 1-line block ×5, first 2 shown]
	s_wait_loadcnt_dscnt 0xb03
	v_mul_f32_e32 v78, v53, v71
	v_dual_mul_f32 v81, v49, v69 :: v_dual_mul_f32 v66, v36, v71
	s_wait_loadcnt_dscnt 0xa02
	v_mul_f32_e32 v80, v57, v73
	s_delay_alu instid0(VALU_DEP_3)
	v_dual_mul_f32 v51, v38, v69 :: v_dual_fmac_f32 v78, v36, v70
	v_mul_f32_e32 v36, v34, v73
	v_fmac_f32_e32 v81, v38, v68
	v_fma_f32 v77, v53, v70, -v66
	v_mul_f32_e32 v38, v32, v75
	v_fmac_f32_e32 v80, v34, v72
	v_fma_f32 v79, v57, v72, -v36
	ds_load_2addr_b32 v[66:67], v92 offset0:104 offset1:229
	s_wait_loadcnt 0x9
	v_dual_mul_f32 v34, v39, v102 :: v_dual_lshlrev_b32 v47, 2, v47
	s_wait_dscnt 0x2
	v_dual_mul_f32 v72, v50, v102 :: v_dual_mul_f32 v83, v64, v75
	v_fma_f32 v82, v64, v74, -v38
	v_mul_f32_e32 v73, v54, v104
	v_fma_f32 v69, v50, v101, -v34
	s_wait_loadcnt 0x8
	v_mul_f32_e32 v34, v35, v106
	v_dual_fmac_f32 v72, v39, v101 :: v_dual_fmac_f32 v83, v32, v74
	v_mul_f32_e32 v32, v37, v104
	v_dual_mul_f32 v74, v58, v106 :: v_dual_mul_f32 v75, v65, v108
	v_fma_f32 v76, v49, v68, -v51
	v_fma_f32 v68, v58, v105, -v34
	s_delay_alu instid0(VALU_DEP_4)
	v_fma_f32 v71, v54, v103, -v32
	v_mul_f32_e32 v34, v33, v108
	v_fmac_f32_e32 v75, v33, v107
	ds_load_2addr_b32 v[32:33], v95 offset0:68 offset1:193
	s_wait_loadcnt_dscnt 0x701
	v_mul_f32_e32 v58, v66, v110
	ds_load_2addr_b32 v[101:102], v93 offset0:50 offset1:175
	v_dual_fmac_f32 v73, v37, v103 :: v_dual_fmac_f32 v74, v35, v105
	ds_load_2addr_b32 v[103:104], v97 offset0:98 offset1:223
	v_mul_f32_e32 v35, v24, v110
	s_wait_loadcnt 0x5
	v_dual_fmac_f32 v58, v24, v109 :: v_dual_mul_f32 v37, v138, v116
	v_mul_f32_e32 v54, v137, v112
	v_mul_f32_e32 v38, v67, v114
	;; [unrolled: 1-line block ×3, first 2 shown]
	ds_load_2addr_b32 v[105:106], v98 offset0:80 offset1:205
	v_fma_f32 v70, v65, v107, -v34
	v_mul_f32_e32 v34, v30, v112
	v_fma_f32 v53, v66, v109, -v35
	v_fmac_f32_e32 v38, v25, v113
	v_fma_f32 v35, v67, v113, -v24
	v_fmac_f32_e32 v37, v31, v115
	v_fmac_f32_e32 v54, v30, v111
	v_mul_f32_e32 v25, v22, v120
	s_wait_loadcnt_dscnt 0x403
	v_mul_f32_e32 v49, v33, v122
	s_wait_dscnt 0x2
	v_dual_mul_f32 v67, v101, v120 :: v_dual_mul_f32 v66, v32, v118
	v_mul_f32_e32 v51, v102, v124
	v_mul_f32_e32 v24, v26, v118
	ds_load_2addr_b32 v[107:108], v99 offset0:62 offset1:187
	v_dual_mul_f32 v30, v31, v116 :: v_dual_fmac_f32 v67, v22, v119
	v_fma_f32 v65, v101, v119, -v25
	v_fmac_f32_e32 v49, v27, v121
	s_wait_loadcnt_dscnt 0x302
	v_dual_fmac_f32 v66, v26, v117 :: v_dual_mul_f32 v31, v103, v126
	v_mul_f32_e32 v22, v27, v122
	v_fmac_f32_e32 v51, v23, v123
	v_fma_f32 v64, v32, v117, -v24
	ds_load_2addr_b32 v[24:25], v100 offset0:44 offset1:169
	v_fmac_f32_e32 v31, v20, v125
	v_fma_f32 v39, v33, v121, -v22
	v_dual_mul_f32 v22, v23, v124 :: v_dual_mul_f32 v23, v20, v126
	v_fma_f32 v36, v138, v115, -v30
	s_wait_dscnt 0x2
	v_mul_f32_e32 v30, v105, v128
	v_mul_f32_e32 v20, v18, v128
	v_fma_f32 v57, v137, v111, -v34
	v_fma_f32 v26, v103, v125, -v23
	s_wait_loadcnt 0x2
	v_mul_f32_e32 v23, v21, v130
	v_fma_f32 v50, v102, v123, -v22
	v_mul_f32_e32 v22, v104, v130
	s_wait_loadcnt_dscnt 0x101
	v_dual_mul_f32 v33, v107, v134 :: v_dual_fmac_f32 v30, v18, v127
	v_fma_f32 v18, v104, v129, -v23
	v_mul_f32_e32 v23, v16, v134
	v_fma_f32 v27, v105, v127, -v20
	s_delay_alu instid0(VALU_DEP_4)
	v_dual_fmac_f32 v33, v16, v133 :: v_dual_mul_f32 v20, v106, v132
	v_dual_fmac_f32 v22, v21, v129 :: v_dual_mul_f32 v21, v19, v132
	s_wait_dscnt 0x0
	v_mul_f32_e32 v34, v24, v136
	v_fma_f32 v32, v107, v133, -v23
	s_wait_loadcnt 0x0
	v_mul_f32_e32 v23, v25, v3
	v_fmac_f32_e32 v20, v19, v131
	v_fma_f32 v19, v106, v131, -v21
	v_mul_f32_e32 v21, v108, v1
	v_dual_mul_f32 v1, v17, v1 :: v_dual_fmac_f32 v34, v14, v135
	v_dual_mul_f32 v3, v15, v3 :: v_dual_mul_f32 v16, v14, v136
	v_fmac_f32_e32 v23, v15, v2
	s_delay_alu instid0(VALU_DEP_4) | instskip(NEXT) | instid1(VALU_DEP_4)
	v_fmac_f32_e32 v21, v17, v0
	v_fma_f32 v0, v108, v0, -v1
	v_add_f32_e32 v1, v78, v80
	v_fma_f32 v84, v25, v2, -v3
	v_dual_sub_f32 v2, v81, v78 :: v_dual_add_f32 v3, v10, v81
	v_and_b32_e32 v14, 0xffff, v48
	s_delay_alu instid0(VALU_DEP_4) | instskip(SKIP_4) | instid1(VALU_DEP_4)
	v_fma_f32 v101, -0.5, v1, v10
	v_sub_f32_e32 v25, v76, v82
	v_dual_sub_f32 v52, v77, v79 :: v_dual_lshlrev_b32 v15, 2, v52
	v_sub_f32_e32 v1, v83, v80
	v_fma_f32 v24, v24, v135, -v16
	v_dual_fmamk_f32 v48, v25, 0xbf737871, v101 :: v_dual_add_f32 v3, v3, v78
	v_dual_sub_f32 v104, v78, v81 :: v_dual_sub_f32 v105, v80, v83
	s_delay_alu instid0(VALU_DEP_4) | instskip(NEXT) | instid1(VALU_DEP_3)
	v_dual_add_f32 v102, v2, v1 :: v_dual_add_f32 v1, v81, v83
	v_add_f32_e32 v16, v3, v80
	s_delay_alu instid0(VALU_DEP_4)
	v_fmac_f32_e32 v48, 0xbf167918, v52
	v_mul_u32_u24_e32 v14, 0x12c, v14
	v_fmac_f32_e32 v101, 0x3f737871, v25
	v_fma_f32 v10, -0.5, v1, v10
	v_add_f32_e32 v103, v16, v83
	ds_load_2addr_b32 v[16:17], v86 offset1:125
	v_dual_add_f32 v104, v104, v105 :: v_dual_fmac_f32 v101, 0x3f167918, v52
	v_fmamk_f32 v106, v52, 0x3f737871, v10
	v_dual_fmac_f32 v10, 0xbf737871, v52 :: v_dual_sub_f32 v81, v81, v83
	v_fmac_f32_e32 v48, 0x3e9e377a, v102
	v_add3_u32 v3, 0, v14, v15
	s_delay_alu instid0(VALU_DEP_4) | instskip(NEXT) | instid1(VALU_DEP_4)
	v_fmac_f32_e32 v106, 0xbf167918, v25
	v_dual_fmac_f32 v10, 0x3f167918, v25 :: v_dual_sub_f32 v83, v82, v79
	v_sub_f32_e32 v52, v76, v77
	ds_load_2addr_b32 v[14:15], v91 offset0:122 offset1:247
	ds_load_2addr_b32 v[1:2], v96 offset0:116 offset1:241
	v_fmac_f32_e32 v10, 0x3e9e377a, v104
	global_wb scope:SCOPE_SE
	s_wait_dscnt 0x0
	v_add_f32_e32 v83, v52, v83
	s_barrier_signal -1
	s_barrier_wait -1
	global_inv scope:SCOPE_SE
	v_add_f32_e32 v25, v16, v76
	v_dual_fmac_f32 v106, 0x3e9e377a, v104 :: v_dual_fmac_f32 v101, 0x3e9e377a, v102
	ds_store_2addr_b32 v3, v103, v48 offset1:15
	v_sub_f32_e32 v102, v74, v75
	v_add_f32_e32 v48, v25, v77
	ds_store_2addr_b32 v3, v106, v10 offset0:30 offset1:45
	v_add_f32_e32 v10, v77, v79
	v_dual_sub_f32 v77, v77, v76 :: v_dual_and_b32 v46, 0xffff, v46
	ds_store_b32 v3, v101 offset:240
	v_fma_f32 v25, -0.5, v10, v16
	v_sub_f32_e32 v10, v78, v80
	v_add_f32_e32 v78, v48, v79
	v_add_f32_e32 v80, v76, v82
	v_mul_u32_u24_e32 v46, 0x12c, v46
	v_fmamk_f32 v48, v81, 0x3f737871, v25
	s_delay_alu instid0(VALU_DEP_4) | instskip(SKIP_3) | instid1(VALU_DEP_4)
	v_dual_fmac_f32 v25, 0xbf737871, v81 :: v_dual_add_f32 v52, v78, v82
	v_sub_f32_e32 v78, v79, v82
	v_sub_f32_e32 v79, v75, v74
	v_add3_u32 v46, 0, v46, v47
	v_fmac_f32_e32 v25, 0xbf167918, v10
	s_delay_alu instid0(VALU_DEP_4) | instskip(NEXT) | instid1(VALU_DEP_2)
	v_dual_add_f32 v77, v77, v78 :: v_dual_sub_f32 v78, v72, v73
	v_fmac_f32_e32 v25, 0x3e9e377a, v83
	s_delay_alu instid0(VALU_DEP_2) | instskip(SKIP_1) | instid1(VALU_DEP_1)
	v_dual_add_f32 v78, v78, v79 :: v_dual_add_f32 v79, v11, v72
	v_fma_f32 v16, -0.5, v80, v16
	v_dual_add_f32 v79, v79, v73 :: v_dual_fmamk_f32 v76, v10, 0xbf737871, v16
	v_fmac_f32_e32 v16, 0x3f737871, v10
	s_delay_alu instid0(VALU_DEP_2) | instskip(NEXT) | instid1(VALU_DEP_2)
	v_fmac_f32_e32 v76, 0x3f167918, v81
	v_dual_fmac_f32 v16, 0xbf167918, v81 :: v_dual_add_f32 v81, v72, v75
	v_fmac_f32_e32 v48, 0x3f167918, v10
	v_add_f32_e32 v10, v73, v74
	s_delay_alu instid0(VALU_DEP_4) | instskip(NEXT) | instid1(VALU_DEP_4)
	v_fmac_f32_e32 v76, 0x3e9e377a, v77
	v_dual_fmac_f32 v16, 0x3e9e377a, v77 :: v_dual_add_f32 v77, v79, v74
	v_add_f32_e32 v79, v17, v69
	s_delay_alu instid0(VALU_DEP_4)
	v_fma_f32 v10, -0.5, v10, v11
	v_fmac_f32_e32 v11, -0.5, v81
	v_dual_sub_f32 v81, v73, v72 :: v_dual_fmac_f32 v48, 0x3e9e377a, v83
	v_sub_f32_e32 v83, v71, v68
	v_add_f32_e32 v77, v77, v75
	v_sub_f32_e32 v75, v72, v75
	s_delay_alu instid0(VALU_DEP_4) | instskip(NEXT) | instid1(VALU_DEP_4)
	v_add_f32_e32 v81, v81, v102
	v_dual_sub_f32 v80, v69, v70 :: v_dual_fmamk_f32 v103, v83, 0x3f737871, v11
	v_fmac_f32_e32 v11, 0xbf737871, v83
	v_dual_sub_f32 v73, v73, v74 :: v_dual_add_f32 v74, v79, v71
	s_delay_alu instid0(VALU_DEP_3) | instskip(NEXT) | instid1(VALU_DEP_1)
	v_fmac_f32_e32 v103, 0xbf167918, v80
	v_dual_add_f32 v74, v74, v68 :: v_dual_fmac_f32 v103, 0x3e9e377a, v81
	v_fmamk_f32 v82, v80, 0xbf737871, v10
	v_fmac_f32_e32 v10, 0x3f737871, v80
	v_dual_fmac_f32 v11, 0x3f167918, v80 :: v_dual_sub_f32 v80, v69, v71
	s_delay_alu instid0(VALU_DEP_3) | instskip(NEXT) | instid1(VALU_DEP_3)
	v_fmac_f32_e32 v82, 0xbf167918, v83
	v_fmac_f32_e32 v10, 0x3f167918, v83
	s_delay_alu instid0(VALU_DEP_3) | instskip(NEXT) | instid1(VALU_DEP_3)
	v_fmac_f32_e32 v11, 0x3e9e377a, v81
	v_dual_sub_f32 v81, v70, v68 :: v_dual_fmac_f32 v82, 0x3e9e377a, v78
	s_delay_alu instid0(VALU_DEP_3) | instskip(SKIP_2) | instid1(VALU_DEP_2)
	v_fmac_f32_e32 v10, 0x3e9e377a, v78
	v_add_f32_e32 v78, v71, v68
	v_sub_f32_e32 v68, v68, v70
	v_fma_f32 v72, -0.5, v78, v17
	v_dual_add_f32 v78, v69, v70 :: v_dual_sub_f32 v69, v71, v69
	v_add_f32_e32 v71, v74, v70
	s_delay_alu instid0(VALU_DEP_2) | instskip(SKIP_1) | instid1(VALU_DEP_2)
	v_dual_fmac_f32 v17, -0.5, v78 :: v_dual_add_f32 v68, v69, v68
	v_sub_f32_e32 v69, v53, v65
	v_fmamk_f32 v70, v73, 0xbf737871, v17
	v_fmac_f32_e32 v17, 0x3f737871, v73
	v_dual_add_f32 v79, v80, v81 :: v_dual_fmamk_f32 v80, v75, 0x3f737871, v72
	v_fmac_f32_e32 v72, 0xbf737871, v75
	s_delay_alu instid0(VALU_DEP_4) | instskip(NEXT) | instid1(VALU_DEP_4)
	v_fmac_f32_e32 v70, 0x3f167918, v75
	v_fmac_f32_e32 v17, 0xbf167918, v75
	s_delay_alu instid0(VALU_DEP_4) | instskip(NEXT) | instid1(VALU_DEP_4)
	v_dual_add_f32 v75, v58, v67 :: v_dual_fmac_f32 v80, 0x3f167918, v73
	v_dual_fmac_f32 v72, 0xbf167918, v73 :: v_dual_add_f32 v73, v54, v66
	ds_store_2addr_b32 v46, v77, v82 offset1:15
	v_sub_f32_e32 v77, v66, v67
	v_fmac_f32_e32 v72, 0x3e9e377a, v79
	v_fma_f32 v47, -0.5, v73, v8
	s_delay_alu instid0(VALU_DEP_1) | instskip(SKIP_2) | instid1(VALU_DEP_1)
	v_dual_sub_f32 v73, v58, v54 :: v_dual_fmamk_f32 v78, v69, 0xbf737871, v47
	v_dual_fmac_f32 v47, 0x3f737871, v69 :: v_dual_sub_f32 v74, v67, v66
	v_dual_fmac_f32 v80, 0x3e9e377a, v79 :: v_dual_sub_f32 v79, v57, v64
	v_fmac_f32_e32 v47, 0x3f167918, v79
	s_delay_alu instid0(VALU_DEP_3) | instskip(SKIP_2) | instid1(VALU_DEP_3)
	v_add_f32_e32 v73, v73, v74
	v_fma_f32 v74, -0.5, v75, v8
	v_sub_f32_e32 v75, v54, v58
	v_fmac_f32_e32 v47, 0x3e9e377a, v73
	s_delay_alu instid0(VALU_DEP_3) | instskip(SKIP_2) | instid1(VALU_DEP_3)
	v_dual_fmamk_f32 v81, v79, 0x3f737871, v74 :: v_dual_add_f32 v8, v8, v58
	v_fmac_f32_e32 v74, 0xbf737871, v79
	v_dual_fmac_f32 v17, 0x3e9e377a, v68 :: v_dual_sub_f32 v58, v58, v67
	v_dual_fmac_f32 v81, 0xbf167918, v69 :: v_dual_add_f32 v8, v8, v54
	v_sub_f32_e32 v54, v54, v66
	s_delay_alu instid0(VALU_DEP_4) | instskip(SKIP_2) | instid1(VALU_DEP_3)
	v_dual_fmac_f32 v74, 0x3f167918, v69 :: v_dual_add_f32 v69, v57, v64
	v_dual_fmac_f32 v70, 0x3e9e377a, v68 :: v_dual_add_f32 v75, v75, v77
	v_sub_f32_e32 v77, v49, v51
	v_fma_f32 v69, -0.5, v69, v14
	v_add_f32_e32 v8, v8, v66
	s_delay_alu instid0(VALU_DEP_4) | instskip(NEXT) | instid1(VALU_DEP_2)
	v_dual_add_f32 v68, v14, v53 :: v_dual_fmac_f32 v81, 0x3e9e377a, v75
	v_add_f32_e32 v8, v8, v67
	s_delay_alu instid0(VALU_DEP_2) | instskip(SKIP_1) | instid1(VALU_DEP_2)
	v_dual_add_f32 v67, v68, v57 :: v_dual_fmac_f32 v78, 0xbf167918, v79
	v_sub_f32_e32 v68, v53, v57
	v_add_f32_e32 v66, v67, v64
	s_delay_alu instid0(VALU_DEP_3) | instskip(SKIP_3) | instid1(VALU_DEP_3)
	v_dual_fmac_f32 v78, 0x3e9e377a, v73 :: v_dual_sub_f32 v73, v65, v64
	v_add_f32_e32 v67, v53, v65
	v_sub_f32_e32 v53, v57, v53
	v_sub_f32_e32 v57, v64, v65
	v_fma_f32 v14, -0.5, v67, v14
	v_dual_sub_f32 v67, v35, v50 :: v_dual_add_f32 v68, v68, v73
	v_fmamk_f32 v73, v58, 0x3f737871, v69
	s_delay_alu instid0(VALU_DEP_4)
	v_add_f32_e32 v53, v53, v57
	v_add_f32_e32 v66, v66, v65
	v_sub_f32_e32 v57, v38, v37
	v_sub_f32_e32 v65, v51, v49
	v_fmac_f32_e32 v73, 0x3f167918, v54
	v_fmac_f32_e32 v74, 0x3e9e377a, v75
	;; [unrolled: 1-line block ×3, first 2 shown]
	v_sub_f32_e32 v75, v36, v39
	v_add_f32_e32 v57, v57, v65
	v_add_f32_e32 v65, v9, v38
	v_fmac_f32_e32 v73, 0x3e9e377a, v68
	v_fmamk_f32 v64, v54, 0xbf737871, v14
	v_fmac_f32_e32 v14, 0x3f737871, v54
	v_fmac_f32_e32 v69, 0xbf167918, v54
	s_delay_alu instid0(VALU_DEP_3) | instskip(NEXT) | instid1(VALU_DEP_3)
	v_dual_add_f32 v65, v65, v37 :: v_dual_fmac_f32 v64, 0x3f167918, v58
	v_fmac_f32_e32 v14, 0xbf167918, v58
	v_add_f32_e32 v58, v38, v51
	s_delay_alu instid0(VALU_DEP_4) | instskip(NEXT) | instid1(VALU_DEP_1)
	v_dual_add_f32 v54, v37, v49 :: v_dual_fmac_f32 v69, 0x3e9e377a, v68
	v_fma_f32 v54, -0.5, v54, v9
	s_delay_alu instid0(VALU_DEP_3) | instskip(SKIP_2) | instid1(VALU_DEP_4)
	v_fmac_f32_e32 v9, -0.5, v58
	v_sub_f32_e32 v58, v37, v38
	v_dual_sub_f32 v38, v38, v51 :: v_dual_sub_f32 v37, v37, v49
	v_fmamk_f32 v68, v67, 0xbf737871, v54
	s_delay_alu instid0(VALU_DEP_4) | instskip(NEXT) | instid1(VALU_DEP_4)
	v_dual_fmac_f32 v54, 0x3f737871, v67 :: v_dual_fmamk_f32 v79, v75, 0x3f737871, v9
	v_dual_fmac_f32 v9, 0xbf737871, v75 :: v_dual_add_f32 v58, v58, v77
	s_delay_alu instid0(VALU_DEP_3) | instskip(NEXT) | instid1(VALU_DEP_3)
	v_fmac_f32_e32 v68, 0xbf167918, v75
	v_fmac_f32_e32 v54, 0x3f167918, v75
	s_delay_alu instid0(VALU_DEP_4) | instskip(NEXT) | instid1(VALU_DEP_4)
	v_fmac_f32_e32 v79, 0xbf167918, v67
	v_fmac_f32_e32 v9, 0x3f167918, v67
	;; [unrolled: 1-line block ×4, first 2 shown]
	v_add_f32_e32 v53, v65, v49
	v_fmac_f32_e32 v68, 0x3e9e377a, v57
	v_dual_fmac_f32 v54, 0x3e9e377a, v57 :: v_dual_add_f32 v57, v15, v35
	v_fmac_f32_e32 v79, 0x3e9e377a, v58
	s_delay_alu instid0(VALU_DEP_4)
	v_add_f32_e32 v53, v53, v51
	v_add_f32_e32 v51, v36, v39
	v_fmac_f32_e32 v9, 0x3e9e377a, v58
	v_add_f32_e32 v57, v57, v36
	v_sub_f32_e32 v58, v35, v36
	v_add_f32_e32 v67, v35, v50
	v_fma_f32 v75, -0.5, v51, v15
	v_sub_f32_e32 v35, v36, v35
	v_add_f32_e32 v51, v57, v39
	v_sub_f32_e32 v65, v50, v39
	v_sub_f32_e32 v39, v39, v50
	s_delay_alu instid0(VALU_DEP_2) | instskip(SKIP_3) | instid1(VALU_DEP_3)
	v_dual_add_f32 v36, v51, v50 :: v_dual_add_f32 v49, v58, v65
	v_fmamk_f32 v65, v38, 0x3f737871, v75
	v_dual_fmac_f32 v75, 0xbf737871, v38 :: v_dual_sub_f32 v58, v27, v32
	v_dual_add_f32 v50, v30, v33 :: v_dual_add_f32 v51, v31, v34
	v_fmac_f32_e32 v65, 0x3f167918, v37
	s_delay_alu instid0(VALU_DEP_3) | instskip(NEXT) | instid1(VALU_DEP_2)
	v_fmac_f32_e32 v75, 0xbf167918, v37
	v_fmac_f32_e32 v65, 0x3e9e377a, v49
	s_delay_alu instid0(VALU_DEP_2) | instskip(SKIP_2) | instid1(VALU_DEP_1)
	v_fmac_f32_e32 v75, 0x3e9e377a, v49
	v_sub_f32_e32 v49, v31, v30
	v_fmac_f32_e32 v15, -0.5, v67
	v_fmamk_f32 v77, v37, 0xbf737871, v15
	v_fmac_f32_e32 v15, 0x3f737871, v37
	v_fma_f32 v37, -0.5, v50, v12
	s_delay_alu instid0(VALU_DEP_3) | instskip(NEXT) | instid1(VALU_DEP_3)
	v_dual_sub_f32 v50, v34, v33 :: v_dual_fmac_f32 v77, 0x3f167918, v38
	v_fmac_f32_e32 v15, 0xbf167918, v38
	s_delay_alu instid0(VALU_DEP_2) | instskip(SKIP_3) | instid1(VALU_DEP_3)
	v_add_f32_e32 v38, v49, v50
	v_fma_f32 v49, -0.5, v51, v12
	v_dual_sub_f32 v50, v30, v31 :: v_dual_sub_f32 v51, v33, v34
	v_dual_add_f32 v12, v12, v31 :: v_dual_sub_f32 v31, v31, v34
	v_fmamk_f32 v67, v58, 0x3f737871, v49
	s_delay_alu instid0(VALU_DEP_3) | instskip(NEXT) | instid1(VALU_DEP_3)
	v_dual_fmac_f32 v49, 0xbf737871, v58 :: v_dual_add_f32 v50, v50, v51
	v_dual_add_f32 v35, v35, v39 :: v_dual_add_f32 v12, v12, v30
	v_sub_f32_e32 v30, v30, v33
	v_sub_f32_e32 v39, v26, v24
	s_delay_alu instid0(VALU_DEP_3) | instskip(NEXT) | instid1(VALU_DEP_4)
	v_fmac_f32_e32 v77, 0x3e9e377a, v35
	v_dual_fmac_f32 v15, 0x3e9e377a, v35 :: v_dual_add_f32 v12, v12, v33
	v_add_f32_e32 v35, v1, v26
	s_delay_alu instid0(VALU_DEP_4) | instskip(SKIP_1) | instid1(VALU_DEP_4)
	v_fmamk_f32 v57, v39, 0xbf737871, v37
	v_fmac_f32_e32 v67, 0xbf167918, v39
	v_dual_fmac_f32 v49, 0x3f167918, v39 :: v_dual_add_f32 v12, v12, v34
	s_delay_alu instid0(VALU_DEP_3) | instskip(SKIP_1) | instid1(VALU_DEP_2)
	v_dual_add_f32 v34, v35, v27 :: v_dual_fmac_f32 v57, 0xbf167918, v58
	v_sub_f32_e32 v35, v26, v27
	v_add_f32_e32 v33, v34, v32
	s_delay_alu instid0(VALU_DEP_3) | instskip(NEXT) | instid1(VALU_DEP_2)
	v_dual_add_f32 v34, v26, v24 :: v_dual_fmac_f32 v57, 0x3e9e377a, v38
	v_add_f32_e32 v33, v33, v24
	s_delay_alu instid0(VALU_DEP_2) | instskip(SKIP_2) | instid1(VALU_DEP_2)
	v_fma_f32 v34, -0.5, v34, v1
	v_fmac_f32_e32 v37, 0x3f737871, v39
	v_sub_f32_e32 v39, v24, v32
	v_dual_sub_f32 v24, v32, v24 :: v_dual_fmac_f32 v37, 0x3f167918, v58
	s_delay_alu instid0(VALU_DEP_2) | instskip(NEXT) | instid1(VALU_DEP_2)
	v_add_f32_e32 v35, v35, v39
	v_dual_fmac_f32 v37, 0x3e9e377a, v38 :: v_dual_add_f32 v38, v27, v32
	v_sub_f32_e32 v32, v18, v84
	s_delay_alu instid0(VALU_DEP_2) | instskip(SKIP_2) | instid1(VALU_DEP_3)
	v_fma_f32 v38, -0.5, v38, v1
	v_dual_sub_f32 v1, v27, v26 :: v_dual_fmamk_f32 v26, v30, 0xbf737871, v34
	v_dual_fmac_f32 v34, 0x3f737871, v30 :: v_dual_add_f32 v27, v20, v21
	v_fmamk_f32 v39, v31, 0x3f737871, v38
	s_delay_alu instid0(VALU_DEP_3) | instskip(NEXT) | instid1(VALU_DEP_4)
	v_dual_fmac_f32 v38, 0xbf737871, v31 :: v_dual_add_f32 v1, v1, v24
	v_fmac_f32_e32 v26, 0x3f167918, v31
	s_delay_alu instid0(VALU_DEP_3) | instskip(NEXT) | instid1(VALU_DEP_3)
	v_dual_sub_f32 v24, v22, v20 :: v_dual_fmac_f32 v39, 0x3f167918, v30
	v_fmac_f32_e32 v38, 0xbf167918, v30
	v_sub_f32_e32 v30, v23, v21
	v_fma_f32 v27, -0.5, v27, v13
	v_fmac_f32_e32 v34, 0xbf167918, v31
	v_add_f32_e32 v31, v22, v23
	v_fmac_f32_e32 v67, 0x3e9e377a, v50
	v_fmac_f32_e32 v39, 0x3e9e377a, v35
	;; [unrolled: 1-line block ×3, first 2 shown]
	v_add_f32_e32 v24, v24, v30
	v_add_f32_e32 v30, v13, v22
	v_fmac_f32_e32 v49, 0x3e9e377a, v50
	v_dual_fmamk_f32 v35, v32, 0xbf737871, v27 :: v_dual_sub_f32 v50, v19, v0
	v_fmac_f32_e32 v13, -0.5, v31
	v_fmac_f32_e32 v27, 0x3f737871, v32
	v_dual_sub_f32 v31, v20, v22 :: v_dual_add_f32 v30, v30, v20
	s_delay_alu instid0(VALU_DEP_4) | instskip(NEXT) | instid1(VALU_DEP_4)
	v_fmac_f32_e32 v35, 0xbf167918, v50
	v_fmamk_f32 v58, v50, 0x3f737871, v13
	v_fmac_f32_e32 v13, 0xbf737871, v50
	v_dual_fmac_f32 v27, 0x3f167918, v50 :: v_dual_sub_f32 v22, v22, v23
	s_delay_alu instid0(VALU_DEP_3) | instskip(NEXT) | instid1(VALU_DEP_3)
	v_dual_sub_f32 v51, v21, v23 :: v_dual_fmac_f32 v58, 0xbf167918, v32
	v_fmac_f32_e32 v13, 0x3f167918, v32
	v_fmac_f32_e32 v26, 0x3e9e377a, v1
	s_delay_alu instid0(VALU_DEP_3)
	v_dual_fmac_f32 v34, 0x3e9e377a, v1 :: v_dual_add_f32 v31, v31, v51
	v_add_f32_e32 v1, v30, v21
	v_fmac_f32_e32 v35, 0x3e9e377a, v24
	v_dual_fmac_f32 v27, 0x3e9e377a, v24 :: v_dual_add_f32 v24, v2, v18
	v_add_f32_e32 v30, v19, v0
	v_fmac_f32_e32 v58, 0x3e9e377a, v31
	v_fmac_f32_e32 v13, 0x3e9e377a, v31
	v_add_f32_e32 v1, v1, v23
	v_sub_f32_e32 v23, v18, v19
	v_sub_f32_e32 v31, v84, v0
	v_add_f32_e32 v24, v24, v19
	v_fma_f32 v32, -0.5, v30, v2
	v_add_f32_e32 v30, v18, v84
	s_delay_alu instid0(VALU_DEP_4) | instskip(NEXT) | instid1(VALU_DEP_3)
	v_dual_sub_f32 v20, v20, v21 :: v_dual_add_f32 v21, v23, v31
	v_dual_add_f32 v23, v24, v0 :: v_dual_fmamk_f32 v24, v22, 0x3f737871, v32
	s_delay_alu instid0(VALU_DEP_3) | instskip(SKIP_2) | instid1(VALU_DEP_4)
	v_fmac_f32_e32 v2, -0.5, v30
	v_fmac_f32_e32 v32, 0xbf737871, v22
	v_sub_f32_e32 v18, v19, v18
	v_add_f32_e32 v19, v23, v84
	v_sub_f32_e32 v0, v0, v84
	v_fmamk_f32 v23, v20, 0xbf737871, v2
	v_fmac_f32_e32 v2, 0x3f737871, v20
	v_fmac_f32_e32 v24, 0x3f167918, v20
	;; [unrolled: 1-line block ×3, first 2 shown]
	v_lshlrev_b32_e32 v20, 2, v41
	v_dual_add_f32 v0, v18, v0 :: v_dual_fmac_f32 v23, 0x3f167918, v22
	v_fmac_f32_e32 v2, 0xbf167918, v22
	v_lshlrev_b32_e32 v22, 2, v45
	s_delay_alu instid0(VALU_DEP_4)
	v_add3_u32 v18, 0, v28, v20
	v_lshlrev_b32_e32 v20, 2, v40
	v_fmac_f32_e32 v23, 0x3e9e377a, v0
	v_fmac_f32_e32 v2, 0x3e9e377a, v0
	v_mul_u32_u24_e32 v0, 0x12c, v29
	v_fmac_f32_e32 v24, 0x3e9e377a, v21
	v_dual_fmac_f32 v32, 0x3e9e377a, v21 :: v_dual_lshlrev_b32 v21, 2, v44
	ds_store_2addr_b32 v46, v103, v11 offset0:30 offset1:45
	ds_store_b32 v46, v10 offset:240
	ds_store_2addr_b32 v18, v8, v78 offset1:15
	v_add3_u32 v20, 0, v0, v20
	v_mul_u32_u24_e32 v0, 0x12c, v43
	v_mul_u32_u24_e32 v8, 0x12c, v42
	ds_store_2addr_b32 v18, v81, v74 offset0:30 offset1:45
	ds_store_b32 v18, v47 offset:240
	ds_store_2addr_b32 v20, v53, v68 offset1:15
	ds_store_2addr_b32 v20, v79, v9 offset0:30 offset1:45
	v_add3_u32 v22, 0, v0, v22
	v_add_nc_u32_e32 v0, 0xffffffb5, v85
	v_add3_u32 v21, 0, v8, v21
	ds_store_b32 v20, v54 offset:240
	ds_store_2addr_b32 v21, v12, v57 offset1:15
	ds_store_2addr_b32 v21, v67, v49 offset0:30 offset1:45
	ds_store_b32 v21, v37 offset:240
	ds_store_2addr_b32 v22, v1, v35 offset1:15
	ds_store_2addr_b32 v22, v58, v13 offset0:30 offset1:45
	ds_store_b32 v22, v27 offset:240
	global_wb scope:SCOPE_SE
	s_wait_dscnt 0x0
	s_barrier_signal -1
	s_barrier_wait -1
	global_inv scope:SCOPE_SE
	ds_load_2addr_b32 v[8:9], v86 offset1:125
	ds_load_2addr_b32 v[10:11], v91 offset0:122 offset1:247
	ds_load_2addr_b32 v[28:29], v87 offset0:110 offset1:235
	;; [unrolled: 1-line block ×14, first 2 shown]
	global_wb scope:SCOPE_SE
	s_wait_dscnt 0x0
	s_barrier_signal -1
	s_barrier_wait -1
	global_inv scope:SCOPE_SE
	ds_store_2addr_b32 v3, v52, v48 offset1:15
	ds_store_2addr_b32 v3, v76, v16 offset0:30 offset1:45
	ds_store_b32 v3, v25 offset:240
	ds_store_2addr_b32 v46, v71, v80 offset1:15
	ds_store_2addr_b32 v46, v70, v17 offset0:30 offset1:45
	ds_store_b32 v46, v72 offset:240
	s_wait_alu 0xf1ff
	v_cndmask_b32_e64 v17, v0, v85, s0
	v_mov_b32_e32 v1, 0
	ds_store_2addr_b32 v18, v66, v73 offset1:15
	ds_store_2addr_b32 v18, v64, v14 offset0:30 offset1:45
	ds_store_b32 v18, v69 offset:240
	ds_store_2addr_b32 v20, v36, v65 offset1:15
	v_mul_lo_u16 v14, 0xdb, v62
	ds_store_2addr_b32 v20, v77, v15 offset0:30 offset1:45
	ds_store_b32 v20, v75 offset:240
	ds_store_2addr_b32 v21, v33, v39 offset1:15
	ds_store_2addr_b32 v21, v26, v34 offset0:30 offset1:45
	v_mul_i32_i24_e32 v0, 9, v17
	ds_store_b32 v21, v38 offset:240
	ds_store_2addr_b32 v22, v19, v24 offset1:15
	ds_store_2addr_b32 v22, v23, v2 offset0:30 offset1:45
	ds_store_b32 v22, v32 offset:240
	global_wb scope:SCOPE_SE
	s_wait_dscnt 0x0
	v_lshrrev_b16 v18, 14, v14
	s_barrier_signal -1
	v_lshlrev_b64_e32 v[12:13], 3, v[0:1]
	v_mul_u32_u24_e32 v0, 0xb4e9, v63
	s_barrier_wait -1
	global_inv scope:SCOPE_SE
	v_lshrrev_b32_e32 v0, 16, v0
	v_add_co_u32 v2, s0, s8, v12
	s_wait_alu 0xf1ff
	v_add_co_ci_u32_e64 v3, s0, s9, v13, s0
	s_delay_alu instid0(VALU_DEP_3)
	v_sub_nc_u16 v12, v56, v0
	v_mul_lo_u16 v13, 0x4b, v18
	v_cmp_lt_u32_e64 s0, 0x4a, v85
	s_clause 0x1
	global_load_b128 v[20:23], v[2:3], off offset:576
	global_load_b128 v[24:27], v[2:3], off offset:592
	v_lshrrev_b16 v12, 1, v12
	v_sub_nc_u16 v13, v55, v13
	global_load_b128 v[36:39], v[2:3], off offset:608
	v_and_b32_e32 v18, 0xffff, v18
	v_add_nc_u16 v0, v12, v0
	v_and_b32_e32 v19, 0xff, v13
	s_delay_alu instid0(VALU_DEP_3) | instskip(NEXT) | instid1(VALU_DEP_3)
	v_mul_u32_u24_e32 v18, 0xbb8, v18
	v_lshrrev_b16 v13, 6, v0
	s_delay_alu instid0(VALU_DEP_3) | instskip(NEXT) | instid1(VALU_DEP_2)
	v_mul_u32_u24_e32 v0, 9, v19
	v_mul_lo_u16 v12, 0x4b, v13
	s_delay_alu instid0(VALU_DEP_2) | instskip(NEXT) | instid1(VALU_DEP_2)
	v_lshlrev_b32_e32 v0, 3, v0
	v_sub_nc_u16 v12, v56, v12
	s_clause 0x1
	global_load_b128 v[40:43], v0, s[8:9] offset:576
	global_load_b128 v[45:48], v0, s[8:9] offset:592
	v_and_b32_e32 v12, 0xffff, v12
	s_delay_alu instid0(VALU_DEP_1) | instskip(SKIP_1) | instid1(VALU_DEP_2)
	v_mul_u32_u24_e32 v14, 9, v12
	v_lshlrev_b32_e32 v12, 2, v12
	v_lshlrev_b32_e32 v14, 3, v14
	s_clause 0x9
	global_load_b128 v[70:73], v14, s[8:9] offset:576
	global_load_b128 v[74:77], v14, s[8:9] offset:592
	global_load_b128 v[78:81], v0, s[8:9] offset:608
	global_load_b128 v[101:104], v14, s[8:9] offset:608
	global_load_b128 v[105:108], v[2:3], off offset:624
	global_load_b128 v[109:112], v0, s[8:9] offset:624
	global_load_b128 v[113:116], v14, s[8:9] offset:624
	global_load_b64 v[131:132], v[2:3], off offset:640
	global_load_b64 v[133:134], v0, s[8:9] offset:640
	global_load_b64 v[135:136], v14, s[8:9] offset:640
	ds_load_2addr_b32 v[2:3], v91 offset0:122 offset1:247
	ds_load_2addr_b32 v[63:64], v87 offset0:110 offset1:235
	ds_load_2addr_b32 v[34:35], v92 offset0:104 offset1:229
	ds_load_2addr_b32 v[137:138], v90 offset0:92 offset1:217
	ds_load_2addr_b32 v[139:140], v94 offset0:86 offset1:211
	ds_load_2addr_b32 v[141:142], v88 offset0:74 offset1:199
	s_wait_loadcnt_dscnt 0xe05
	v_mul_f32_e32 v49, v3, v21
	v_mul_f32_e32 v0, v11, v21
	s_wait_dscnt 0x4
	v_mul_f32_e32 v14, v63, v23
	v_mul_f32_e32 v15, v28, v23
	s_wait_loadcnt_dscnt 0xd03
	v_mul_f32_e32 v33, v35, v25
	v_fmac_f32_e32 v49, v11, v20
	v_fma_f32 v53, v3, v20, -v0
	ds_load_2addr_b32 v[20:21], v96 offset0:116 offset1:241
	v_dual_mul_f32 v0, v31, v25 :: v_dual_mul_f32 v3, v50, v27
	v_fmac_f32_e32 v14, v28, v22
	v_fma_f32 v65, v63, v22, -v15
	v_fmac_f32_e32 v33, v31, v24
	s_delay_alu instid0(VALU_DEP_4)
	v_fma_f32 v31, v35, v24, -v0
	s_wait_dscnt 0x3
	v_fma_f32 v66, v137, v26, -v3
	s_wait_loadcnt 0xc
	v_dual_mul_f32 v0, v68, v37 :: v_dual_mul_f32 v3, v57, v39
	s_wait_dscnt 0x1
	v_mul_f32_e32 v15, v141, v39
	ds_load_2addr_b32 v[23:24], v97 offset0:98 offset1:223
	v_mul_f32_e32 v11, v137, v27
	v_fma_f32 v16, v140, v36, -v0
	v_mul_f32_e32 v35, v140, v37
	s_wait_loadcnt 0xb
	v_mul_f32_e32 v62, v64, v43
	s_wait_loadcnt 0xa
	v_mul_f32_e32 v22, v51, v48
	v_dual_mul_f32 v0, v121, v41 :: v_dual_fmac_f32 v35, v68, v36
	s_wait_dscnt 0x1
	v_mul_f32_e32 v44, v20, v41
	v_fmac_f32_e32 v62, v29, v42
	v_fma_f32 v41, v138, v47, -v22
	v_fma_f32 v52, v20, v40, -v0
	v_mul_f32_e32 v0, v123, v46
	v_fmac_f32_e32 v44, v121, v40
	s_wait_loadcnt 0x7
	v_mul_f32_e32 v20, v58, v81
	v_mul_f32_e32 v68, v142, v81
	s_wait_loadcnt 0x5
	v_mul_f32_e32 v22, v83, v106
	v_fma_f32 v69, v141, v38, -v3
	v_mul_f32_e32 v3, v29, v43
	s_wait_dscnt 0x0
	v_fma_f32 v29, v23, v45, -v0
	v_mul_f32_e32 v0, v30, v73
	v_dual_mul_f32 v28, v23, v46 :: v_dual_mul_f32 v23, v24, v75
	v_fma_f32 v39, v64, v42, -v3
	ds_load_2addr_b32 v[42:43], v95 offset0:68 offset1:193
	v_mul_f32_e32 v3, v122, v71
	v_fma_f32 v0, v34, v72, -v0
	v_fma_f32 v46, v142, v80, -v20
	v_mul_f32_e32 v20, v125, v79
	v_mul_f32_e32 v64, v139, v77
	v_fmac_f32_e32 v28, v123, v45
	v_fmac_f32_e32 v68, v58, v80
	v_sub_f32_e32 v144, v66, v69
	s_delay_alu instid0(VALU_DEP_4)
	v_fmac_f32_e32 v64, v67, v76
	s_wait_dscnt 0x0
	v_mul_f32_e32 v36, v43, v106
	v_fmac_f32_e32 v11, v50, v26
	ds_load_2addr_b32 v[26:27], v98 offset0:80 offset1:205
	v_fmac_f32_e32 v15, v57, v38
	v_mul_f32_e32 v57, v34, v73
	v_fma_f32 v50, v21, v70, -v3
	v_fmac_f32_e32 v23, v124, v74
	s_wait_loadcnt 0x1
	v_dual_mul_f32 v45, v129, v134 :: v_dual_fmac_f32 v36, v83, v105
	v_fmac_f32_e32 v57, v30, v72
	v_mul_f32_e32 v3, v124, v75
	ds_load_2addr_b32 v[72:73], v89 offset0:56 offset1:181
	v_fma_f32 v24, v24, v74, -v3
	ds_load_2addr_b32 v[74:75], v99 offset0:62 offset1:187
	v_mul_f32_e32 v63, v138, v48
	v_mul_f32_e32 v3, v67, v77
	;; [unrolled: 1-line block ×3, first 2 shown]
	s_wait_dscnt 0x2
	v_fma_f32 v48, v26, v78, -v20
	v_dual_mul_f32 v20, v82, v104 :: v_dual_fmac_f32 v63, v51, v47
	v_mul_f32_e32 v47, v21, v71
	v_mul_f32_e32 v21, v126, v102
	;; [unrolled: 1-line block ×3, first 2 shown]
	s_delay_alu instid0(VALU_DEP_4)
	v_fma_f32 v40, v42, v103, -v20
	v_fma_f32 v20, v43, v105, -v22
	v_mul_f32_e32 v22, v117, v108
	v_fma_f32 v38, v27, v101, -v21
	s_wait_dscnt 0x1
	v_dual_mul_f32 v21, v72, v108 :: v_dual_fmac_f32 v30, v125, v78
	ds_load_2addr_b32 v[78:79], v100 offset0:44 offset1:169
	v_fma_f32 v72, v72, v107, -v22
	v_mul_f32_e32 v22, v128, v114
	v_mul_f32_e32 v26, v118, v112
	v_fmac_f32_e32 v67, v82, v103
	s_wait_dscnt 0x1
	v_mul_f32_e32 v32, v74, v110
	v_sub_f32_e32 v81, v38, v24
	v_fma_f32 v42, v75, v113, -v22
	v_mul_f32_e32 v22, v120, v132
	v_fma_f32 v3, v139, v76, -v3
	ds_load_2addr_b32 v[76:77], v93 offset0:50 offset1:175
	v_fma_f32 v51, v73, v111, -v26
	v_mul_f32_e32 v26, v75, v114
	v_fmac_f32_e32 v47, v122, v70
	v_sub_f32_e32 v108, v38, v42
	v_fmac_f32_e32 v32, v127, v109
	v_sub_f32_e32 v84, v30, v28
	v_fmac_f32_e32 v26, v128, v113
	v_add_f32_e32 v106, v47, v23
	v_sub_f32_e32 v122, v41, v46
	s_wait_dscnt 0x1
	v_fma_f32 v58, v78, v133, -v45
	v_sub_f32_e32 v103, v3, v40
	v_mul_f32_e32 v71, v73, v112
	s_wait_loadcnt 0x0
	v_mul_f32_e32 v73, v130, v136
	v_mul_f32_e32 v34, v78, v134
	v_sub_f32_e32 v123, v29, v58
	v_sub_f32_e32 v104, v63, v62
	;; [unrolled: 1-line block ×3, first 2 shown]
	v_fma_f32 v45, v79, v135, -v73
	s_wait_dscnt 0x0
	v_dual_mul_f32 v25, v27, v102 :: v_dual_mul_f32 v70, v76, v116
	v_dual_mul_f32 v27, v127, v110 :: v_dual_fmac_f32 v34, v129, v133
	v_add_f32_e32 v73, v64, v67
	s_delay_alu instid0(VALU_DEP_3) | instskip(NEXT) | instid1(VALU_DEP_3)
	v_dual_add_f32 v83, v10, v57 :: v_dual_fmac_f32 v70, v119, v115
	v_fma_f32 v54, v74, v109, -v27
	v_mul_f32_e32 v27, v119, v116
	s_delay_alu instid0(VALU_DEP_4) | instskip(NEXT) | instid1(VALU_DEP_4)
	v_fma_f32 v80, -0.5, v73, v10
	v_dual_sub_f32 v75, v64, v57 :: v_dual_add_f32 v74, v57, v70
	v_dual_fmac_f32 v21, v117, v107 :: v_dual_sub_f32 v82, v42, v45
	s_delay_alu instid0(VALU_DEP_4) | instskip(NEXT) | instid1(VALU_DEP_3)
	v_fma_f32 v43, v76, v115, -v27
	v_dual_mul_f32 v27, v79, v136 :: v_dual_fmac_f32 v10, -0.5, v74
	v_fma_f32 v22, v77, v131, -v22
	v_add_f32_e32 v116, v44, v28
	s_delay_alu instid0(VALU_DEP_4) | instskip(NEXT) | instid1(VALU_DEP_4)
	v_sub_f32_e32 v109, v0, v43
	v_dual_fmac_f32 v27, v130, v135 :: v_dual_fmamk_f32 v102, v103, 0x3f737871, v10
	v_dual_fmac_f32 v25, v126, v101 :: v_dual_sub_f32 v76, v67, v70
	v_fmac_f32_e32 v10, 0xbf737871, v103
	s_delay_alu instid0(VALU_DEP_3) | instskip(SKIP_1) | instid1(VALU_DEP_4)
	v_add_f32_e32 v74, v23, v27
	v_sub_f32_e32 v79, v26, v27
	v_sub_f32_e32 v107, v25, v26
	v_mul_f32_e32 v37, v77, v132
	v_add_f32_e32 v101, v75, v76
	v_dual_add_f32 v75, v38, v42 :: v_dual_add_f32 v76, v24, v45
	v_dual_fmac_f32 v10, 0x3f167918, v109 :: v_dual_add_f32 v77, v25, v26
	v_add_f32_e32 v112, v81, v82
	v_add_f32_e32 v82, v28, v34
	s_delay_alu instid0(VALU_DEP_3) | instskip(NEXT) | instid1(VALU_DEP_4)
	v_dual_sub_f32 v121, v28, v34 :: v_dual_fmac_f32 v10, 0x3e9e377a, v101
	v_fma_f32 v73, -0.5, v77, v47
	v_fmac_f32_e32 v47, -0.5, v74
	v_fma_f32 v74, -0.5, v75, v50
	v_add_f32_e32 v75, v50, v24
	v_fmac_f32_e32 v50, -0.5, v76
	v_sub_f32_e32 v78, v25, v23
	v_dual_fmac_f32 v71, v118, v111 :: v_dual_add_f32 v118, v29, v58
	s_delay_alu instid0(VALU_DEP_3) | instskip(NEXT) | instid1(VALU_DEP_3)
	v_dual_add_f32 v115, v9, v62 :: v_dual_fmamk_f32 v76, v107, 0xbf737871, v50
	v_dual_add_f32 v113, v78, v79 :: v_dual_add_f32 v78, v63, v68
	v_fmac_f32_e32 v50, 0x3f737871, v107
	v_fmac_f32_e32 v37, v120, v131
	v_dual_sub_f32 v110, v23, v27 :: v_dual_sub_f32 v111, v24, v45
	s_delay_alu instid0(VALU_DEP_4) | instskip(SKIP_1) | instid1(VALU_DEP_3)
	v_fma_f32 v114, -0.5, v78, v9
	v_dual_add_f32 v78, v30, v32 :: v_dual_sub_f32 v117, v32, v34
	v_dual_fmac_f32 v50, 0xbf167918, v110 :: v_dual_sub_f32 v119, v48, v29
	v_sub_f32_e32 v120, v54, v58
	s_delay_alu instid0(VALU_DEP_3) | instskip(SKIP_1) | instid1(VALU_DEP_4)
	v_fma_f32 v78, -0.5, v78, v44
	v_dual_fmac_f32 v44, -0.5, v82 :: v_dual_add_f32 v79, v62, v71
	v_dual_fmac_f32 v50, 0x3e9e377a, v112 :: v_dual_add_f32 v117, v84, v117
	s_delay_alu instid0(VALU_DEP_4) | instskip(NEXT) | instid1(VALU_DEP_2)
	v_dual_add_f32 v119, v119, v120 :: v_dual_sub_f32 v120, v48, v54
	v_dual_fmac_f32 v9, -0.5, v79 :: v_dual_mul_f32 v126, 0xbf737871, v50
	v_add_f32_e32 v79, v48, v54
	v_add_f32_e32 v81, v52, v29
	s_delay_alu instid0(VALU_DEP_3) | instskip(SKIP_1) | instid1(VALU_DEP_4)
	v_dual_sub_f32 v105, v68, v71 :: v_dual_fmamk_f32 v124, v122, 0x3f737871, v9
	v_fmamk_f32 v82, v120, 0x3f737871, v44
	v_fma_f32 v79, -0.5, v79, v52
	v_fmac_f32_e32 v52, -0.5, v118
	v_dual_sub_f32 v118, v30, v32 :: v_dual_fmamk_f32 v77, v108, 0x3f737871, v47
	v_fmac_f32_e32 v47, 0xbf737871, v108
	v_fmac_f32_e32 v44, 0xbf737871, v120
	v_add_f32_e32 v128, v14, v21
	s_delay_alu instid0(VALU_DEP_4) | instskip(SKIP_4) | instid1(VALU_DEP_4)
	v_fmamk_f32 v84, v118, 0xbf737871, v52
	v_fmac_f32_e32 v52, 0x3f737871, v118
	v_fmac_f32_e32 v47, 0x3f167918, v111
	v_dual_fmac_f32 v9, 0xbf737871, v122 :: v_dual_sub_f32 v132, v37, v36
	v_dual_sub_f32 v125, v39, v51 :: v_dual_sub_f32 v134, v22, v20
	v_fmac_f32_e32 v52, 0xbf167918, v121
	s_delay_alu instid0(VALU_DEP_4) | instskip(SKIP_1) | instid1(VALU_DEP_3)
	v_fmac_f32_e32 v47, 0x3e9e377a, v113
	v_dual_fmac_f32 v44, 0x3f167918, v123 :: v_dual_sub_f32 v133, v31, v16
	v_dual_add_f32 v127, v104, v105 :: v_dual_fmac_f32 v52, 0x3e9e377a, v119
	s_delay_alu instid0(VALU_DEP_3) | instskip(SKIP_3) | instid1(VALU_DEP_4)
	v_fmac_f32_e32 v126, 0xbe9e377a, v47
	v_add_f32_e32 v105, v11, v15
	v_fmac_f32_e32 v9, 0x3f167918, v125
	v_fma_f32 v128, -0.5, v128, v8
	v_dual_mul_f32 v104, 0xbf737871, v52 :: v_dual_add_f32 v129, v10, v126
	v_sub_f32_e32 v10, v10, v126
	v_fmac_f32_e32 v44, 0x3e9e377a, v117
	v_fma_f32 v126, -0.5, v105, v8
	v_dual_sub_f32 v131, v33, v35 :: v_dual_add_f32 v8, v8, v14
	v_dual_sub_f32 v105, v21, v15 :: v_dual_sub_f32 v142, v16, v20
	s_delay_alu instid0(VALU_DEP_4) | instskip(SKIP_1) | instid1(VALU_DEP_4)
	v_dual_fmac_f32 v104, 0xbe9e377a, v44 :: v_dual_sub_f32 v137, v31, v22
	v_add_f32_e32 v150, v33, v37
	v_dual_add_f32 v8, v8, v11 :: v_dual_add_f32 v131, v131, v132
	v_dual_add_f32 v132, v133, v134 :: v_dual_fmac_f32 v9, 0x3e9e377a, v127
	v_sub_f32_e32 v134, v33, v37
	s_delay_alu instid0(VALU_DEP_3)
	v_add_f32_e32 v8, v8, v15
	v_sub_f32_e32 v140, v65, v72
	v_sub_f32_e32 v148, v15, v21
	v_add_f32_e32 v130, v9, v104
	v_dual_sub_f32 v9, v9, v104 :: v_dual_sub_f32 v104, v14, v11
	v_add_f32_e32 v8, v8, v21
	v_fmamk_f32 v149, v144, 0x3f737871, v128
	v_fmac_f32_e32 v128, 0xbf737871, v144
	v_fmamk_f32 v143, v140, 0xbf737871, v126
	v_add_f32_e32 v135, v104, v105
	v_add_f32_e32 v104, v16, v20
	;; [unrolled: 1-line block ×3, first 2 shown]
	v_fmac_f32_e32 v128, 0x3f167918, v140
	v_fmac_f32_e32 v126, 0x3f737871, v140
	v_sub_f32_e32 v28, v28, v30
	v_fma_f32 v133, -0.5, v104, v53
	v_fma_f32 v136, -0.5, v105, v49
	v_add_f32_e32 v105, v49, v33
	v_sub_f32_e32 v147, v11, v14
	v_fmac_f32_e32 v49, -0.5, v150
	v_fmamk_f32 v138, v134, 0x3f737871, v133
	v_fmamk_f32 v141, v137, 0xbf737871, v136
	v_dual_add_f32 v105, v105, v35 :: v_dual_fmac_f32 v136, 0x3f737871, v137
	s_wait_alu 0xf1ff
	v_cndmask_b32_e64 v104, 0, 0xbb8, s0
	v_add_f32_e32 v147, v147, v148
	v_dual_sub_f32 v33, v35, v33 :: v_dual_fmac_f32 v126, 0x3f167918, v144
	v_fmamk_f32 v148, v142, 0x3f737871, v49
	v_dual_fmac_f32 v138, 0x3f167918, v139 :: v_dual_lshlrev_b32 v17, 2, v17
	v_dual_add_f32 v105, v105, v36 :: v_dual_fmac_f32 v136, 0x3f167918, v142
	v_dual_sub_f32 v35, v36, v37 :: v_dual_add_f32 v36, v31, v22
	s_delay_alu instid0(VALU_DEP_3) | instskip(NEXT) | instid1(VALU_DEP_4)
	v_fmac_f32_e32 v138, 0x3e9e377a, v132
	v_add3_u32 v146, 0, v104, v17
	s_delay_alu instid0(VALU_DEP_4) | instskip(NEXT) | instid1(VALU_DEP_4)
	v_fmac_f32_e32 v136, 0x3e9e377a, v131
	v_add_f32_e32 v33, v33, v35
	v_fmac_f32_e32 v49, 0xbf737871, v142
	v_add_f32_e32 v35, v53, v31
	v_dual_fmac_f32 v53, -0.5, v36 :: v_dual_fmac_f32 v128, 0x3e9e377a, v147
	v_fmac_f32_e32 v133, 0xbf737871, v134
	v_dual_fmac_f32 v143, 0xbf167918, v144 :: v_dual_sub_f32 v36, v20, v22
	v_sub_f32_e32 v31, v16, v31
	v_fmac_f32_e32 v49, 0x3f167918, v137
	v_fmamk_f32 v150, v139, 0xbf737871, v53
	v_fmac_f32_e32 v53, 0x3f737871, v139
	v_fmac_f32_e32 v133, 0xbf167918, v139
	v_add_f32_e32 v17, v105, v37
	v_dual_add_f32 v31, v31, v36 :: v_dual_fmac_f32 v126, 0x3e9e377a, v135
	v_fmac_f32_e32 v150, 0x3f167918, v134
	v_fmac_f32_e32 v53, 0xbf167918, v134
	;; [unrolled: 1-line block ×3, first 2 shown]
	v_dual_fmac_f32 v141, 0xbf167918, v142 :: v_dual_fmac_f32 v148, 0xbf167918, v137
	v_mul_f32_e32 v145, 0xbf167918, v138
	v_dual_add_f32 v151, v8, v17 :: v_dual_fmac_f32 v150, 0x3e9e377a, v31
	v_fmac_f32_e32 v53, 0x3e9e377a, v31
	v_dual_mul_f32 v36, 0xbf167918, v133 :: v_dual_fmac_f32 v149, 0xbf167918, v140
	s_delay_alu instid0(VALU_DEP_3) | instskip(SKIP_1) | instid1(VALU_DEP_3)
	v_dual_sub_f32 v8, v8, v17 :: v_dual_mul_f32 v31, 0xbf737871, v150
	v_dual_sub_f32 v29, v29, v48 :: v_dual_fmac_f32 v84, 0x3f167918, v121
	v_fmac_f32_e32 v36, 0xbf4f1bbd, v136
	v_dual_fmac_f32 v141, 0x3e9e377a, v131 :: v_dual_fmac_f32 v148, 0x3e9e377a, v33
	v_fmac_f32_e32 v49, 0x3e9e377a, v33
	v_mul_f32_e32 v33, 0xbf737871, v53
	v_fmac_f32_e32 v124, 0xbf167918, v125
	s_delay_alu instid0(VALU_DEP_4) | instskip(SKIP_1) | instid1(VALU_DEP_4)
	v_fmac_f32_e32 v145, 0x3f4f1bbd, v141
	v_dual_fmac_f32 v31, 0x3e9e377a, v148 :: v_dual_fmac_f32 v84, 0x3e9e377a, v119
	v_fmac_f32_e32 v33, 0xbe9e377a, v49
	v_fmac_f32_e32 v149, 0x3e9e377a, v147
	;; [unrolled: 1-line block ×3, first 2 shown]
	v_dual_add_f32 v17, v126, v36 :: v_dual_add_nc_u32 v134, 0x400, v146
	s_delay_alu instid0(VALU_DEP_3) | instskip(SKIP_1) | instid1(VALU_DEP_4)
	v_dual_add_f32 v132, v128, v33 :: v_dual_add_f32 v131, v149, v31
	v_sub_f32_e32 v31, v149, v31
	v_add_f32_e32 v37, v143, v145
	v_dual_sub_f32 v135, v143, v145 :: v_dual_fmac_f32 v124, 0x3e9e377a, v127
	v_add_nc_u32_e32 v137, 0x600, v146
	ds_load_2addr_b32 v[104:105], v86 offset1:125
	global_wb scope:SCOPE_SE
	s_wait_dscnt 0x0
	s_barrier_signal -1
	s_barrier_wait -1
	global_inv scope:SCOPE_SE
	ds_store_2addr_b32 v146, v151, v37 offset1:75
	ds_store_2addr_b32 v146, v131, v132 offset0:150 offset1:225
	ds_store_2addr_b32 v134, v17, v8 offset0:44 offset1:119
	;; [unrolled: 1-line block ×3, first 2 shown]
	v_dual_add_f32 v17, v116, v30 :: v_dual_sub_f32 v30, v34, v32
	v_dual_sub_f32 v31, v126, v36 :: v_dual_fmac_f32 v82, 0xbf167918, v123
	v_fmamk_f32 v116, v121, 0x3f737871, v79
	s_delay_alu instid0(VALU_DEP_3)
	v_dual_fmac_f32 v79, 0xbf737871, v121 :: v_dual_add_f32 v28, v28, v30
	v_add_f32_e32 v30, v115, v63
	v_fmamk_f32 v115, v123, 0xbf737871, v78
	v_dual_fmac_f32 v78, 0x3f737871, v123 :: v_dual_add_f32 v17, v17, v32
	v_fmac_f32_e32 v82, 0x3e9e377a, v117
	v_sub_f32_e32 v32, v58, v54
	v_dual_fmac_f32 v79, 0xbf167918, v118 :: v_dual_sub_f32 v8, v128, v33
	v_dual_sub_f32 v33, v62, v63 :: v_dual_sub_f32 v36, v71, v68
	s_delay_alu instid0(VALU_DEP_3)
	v_add_f32_e32 v29, v29, v32
	v_dual_add_f32 v17, v17, v34 :: v_dual_fmac_f32 v78, 0x3f167918, v120
	v_fmamk_f32 v32, v125, 0xbf737871, v114
	v_fmac_f32_e32 v116, 0x3f167918, v118
	v_dual_fmac_f32 v115, 0xbf167918, v120 :: v_dual_sub_f32 v24, v24, v38
	v_fmac_f32_e32 v114, 0x3f737871, v125
	v_fmac_f32_e32 v79, 0x3e9e377a, v29
	v_add_f32_e32 v33, v33, v36
	v_dual_fmac_f32 v78, 0x3e9e377a, v28 :: v_dual_lshlrev_b32 v19, 2, v19
	s_delay_alu instid0(VALU_DEP_4)
	v_fmac_f32_e32 v114, 0x3f167918, v122
	v_fmac_f32_e32 v115, 0x3e9e377a, v28
	v_mul_f32_e32 v28, 0xbf167918, v79
	v_fmac_f32_e32 v116, 0x3e9e377a, v29
	v_add3_u32 v126, 0, v18, v19
	v_fmac_f32_e32 v114, 0x3e9e377a, v33
	v_add_f32_e32 v18, v30, v68
	s_delay_alu instid0(VALU_DEP_4) | instskip(SKIP_2) | instid1(VALU_DEP_4)
	v_dual_fmac_f32 v32, 0xbf167918, v122 :: v_dual_mul_f32 v19, 0xbf167918, v116
	v_mul_f32_e32 v29, 0xbf737871, v84
	v_add_nc_u32_e32 v128, 0x800, v146
	v_add_f32_e32 v18, v18, v71
	s_delay_alu instid0(VALU_DEP_4)
	v_fmac_f32_e32 v32, 0x3e9e377a, v33
	v_fmac_f32_e32 v19, 0x3f4f1bbd, v115
	;; [unrolled: 1-line block ×4, first 2 shown]
	v_add_f32_e32 v30, v18, v17
	v_dual_sub_f32 v17, v18, v17 :: v_dual_add_nc_u32 v118, 0x600, v126
	v_add_f32_e32 v33, v32, v19
	v_add_f32_e32 v34, v124, v29
	v_dual_add_f32 v18, v114, v28 :: v_dual_add_nc_u32 v117, 0x400, v126
	v_sub_f32_e32 v19, v32, v19
	v_sub_f32_e32 v29, v124, v29
	ds_store_2addr_b32 v128, v8, v31 offset0:88 offset1:163
	ds_store_2addr_b32 v126, v30, v33 offset1:75
	ds_store_2addr_b32 v126, v34, v130 offset0:150 offset1:225
	ds_store_2addr_b32 v117, v18, v17 offset0:44 offset1:119
	;; [unrolled: 1-line block ×3, first 2 shown]
	v_sub_f32_e32 v8, v114, v28
	v_fmamk_f32 v114, v110, 0x3f737871, v74
	v_dual_add_f32 v17, v106, v25 :: v_dual_sub_f32 v18, v57, v64
	v_dual_sub_f32 v19, v70, v67 :: v_dual_fmac_f32 v74, 0xbf737871, v110
	v_dual_sub_f32 v23, v23, v25 :: v_dual_fmac_f32 v76, 0x3f167918, v110
	;; [unrolled: 1-line block ×3, first 2 shown]
	s_delay_alu instid0(VALU_DEP_3) | instskip(SKIP_1) | instid1(VALU_DEP_3)
	v_add_f32_e32 v18, v18, v19
	v_dual_fmac_f32 v114, 0x3f167918, v107 :: v_dual_add_f32 v17, v17, v26
	v_dual_sub_f32 v26, v45, v42 :: v_dual_add_f32 v19, v23, v25
	v_fmac_f32_e32 v74, 0xbf167918, v107
	v_fmamk_f32 v25, v109, 0xbf737871, v80
	s_delay_alu instid0(VALU_DEP_3) | instskip(SKIP_1) | instid1(VALU_DEP_3)
	v_dual_fmac_f32 v80, 0x3f737871, v109 :: v_dual_add_f32 v23, v24, v26
	v_dual_add_f32 v24, v83, v64 :: v_dual_fmac_f32 v77, 0xbf167918, v111
	v_fmac_f32_e32 v25, 0xbf167918, v103
	v_fmac_f32_e32 v76, 0x3e9e377a, v112
	s_delay_alu instid0(VALU_DEP_4)
	v_fmac_f32_e32 v74, 0x3e9e377a, v23
	v_fmac_f32_e32 v114, 0x3e9e377a, v23
	v_add_f32_e32 v17, v17, v27
	v_fmac_f32_e32 v25, 0x3e9e377a, v18
	v_fmamk_f32 v83, v111, 0xbf737871, v73
	v_fmac_f32_e32 v73, 0x3f737871, v111
	v_fmac_f32_e32 v80, 0x3f167918, v103
	;; [unrolled: 1-line block ×3, first 2 shown]
	v_mul_f32_e32 v23, 0xbf737871, v76
	v_fmac_f32_e32 v102, 0x3e9e377a, v101
	v_fmac_f32_e32 v73, 0x3f167918, v108
	;; [unrolled: 1-line block ×3, first 2 shown]
	v_dual_fmac_f32 v83, 0xbf167918, v108 :: v_dual_sub_f32 v108, v11, v15
	v_fmac_f32_e32 v23, 0x3e9e377a, v77
	v_dual_add_f32 v24, v24, v67 :: v_dual_and_b32 v13, 0xffff, v13
	s_delay_alu instid0(VALU_DEP_3) | instskip(SKIP_1) | instid1(VALU_DEP_4)
	v_fmac_f32_e32 v83, 0x3e9e377a, v19
	v_fmac_f32_e32 v73, 0x3e9e377a, v19
	v_add_f32_e32 v26, v102, v23
	s_delay_alu instid0(VALU_DEP_4) | instskip(SKIP_3) | instid1(VALU_DEP_4)
	v_mul_u32_u24_e32 v13, 0xbb8, v13
	v_dual_mul_f32 v19, 0xbf167918, v74 :: v_dual_add_f32 v36, v65, v72
	v_mul_f32_e32 v111, 0x3f4f1bbd, v138
	v_sub_f32_e32 v103, v14, v21
	v_add3_u32 v119, 0, v13, v12
	v_dual_mul_f32 v13, 0xbf167918, v114 :: v_dual_sub_f32 v14, v72, v69
	s_delay_alu instid0(VALU_DEP_4) | instskip(SKIP_1) | instid1(VALU_DEP_3)
	v_dual_add_f32 v12, v24, v70 :: v_dual_fmac_f32 v111, 0x3f167918, v141
	v_fmac_f32_e32 v19, 0xbf4f1bbd, v73
	v_fmac_f32_e32 v13, 0x3f4f1bbd, v83
	v_add_nc_u32_e32 v106, 0x800, v126
	s_delay_alu instid0(VALU_DEP_4) | instskip(SKIP_1) | instid1(VALU_DEP_4)
	v_add_f32_e32 v18, v12, v17
	v_sub_f32_e32 v12, v12, v17
	v_dual_add_f32 v17, v80, v19 :: v_dual_add_f32 v24, v25, v13
	v_sub_f32_e32 v57, v57, v70
	v_sub_f32_e32 v121, v46, v51
	v_add_nc_u32_e32 v101, 0x400, v119
	v_sub_f32_e32 v13, v25, v13
	v_sub_f32_e32 v23, v102, v23
	v_add_nc_u32_e32 v102, 0x600, v119
	ds_store_2addr_b32 v106, v9, v8 offset0:88 offset1:163
	ds_store_2addr_b32 v119, v18, v24 offset1:75
	ds_store_2addr_b32 v119, v26, v129 offset0:150 offset1:225
	ds_store_2addr_b32 v101, v17, v12 offset0:44 offset1:119
	ds_store_2addr_b32 v102, v13, v23 offset0:66 offset1:141
	v_add_f32_e32 v9, v66, v69
	v_dual_add_f32 v13, v104, v65 :: v_dual_sub_f32 v70, v3, v0
	v_dual_add_f32 v12, v35, v16 :: v_dual_mul_f32 v53, 0xbe9e377a, v53
	v_mul_f32_e32 v50, 0xbe9e377a, v50
	s_delay_alu instid0(VALU_DEP_4) | instskip(SKIP_4) | instid1(VALU_DEP_3)
	v_fma_f32 v107, -0.5, v9, v104
	v_sub_f32_e32 v9, v65, v66
	v_dual_add_f32 v11, v13, v66 :: v_dual_sub_f32 v62, v62, v71
	v_dual_sub_f32 v65, v66, v65 :: v_dual_sub_f32 v66, v69, v72
	v_add_f32_e32 v12, v12, v20
	v_dual_add_f32 v110, v9, v14 :: v_dual_add_f32 v9, v11, v69
	s_delay_alu instid0(VALU_DEP_3) | instskip(SKIP_1) | instid1(VALU_DEP_4)
	v_dual_mul_f32 v52, 0xbe9e377a, v52 :: v_dual_add_f32 v65, v65, v66
	v_mul_f32_e32 v66, 0x3e9e377a, v150
	v_dual_add_f32 v112, v12, v22 :: v_dual_sub_f32 v63, v63, v68
	s_delay_alu instid0(VALU_DEP_4) | instskip(NEXT) | instid1(VALU_DEP_3)
	v_dual_fmac_f32 v50, 0x3f737871, v47 :: v_dual_add_f32 v113, v9, v72
	v_dual_fmac_f32 v66, 0x3f737871, v148 :: v_dual_fmamk_f32 v109, v103, 0x3f737871, v107
	v_sub_f32_e32 v64, v64, v67
	v_fma_f32 v104, -0.5, v36, v104
	s_delay_alu instid0(VALU_DEP_4) | instskip(SKIP_4) | instid1(VALU_DEP_4)
	v_add_f32_e32 v72, v113, v112
	v_dual_add_f32 v71, v41, v46 :: v_dual_fmac_f32 v52, 0x3f737871, v44
	v_fmac_f32_e32 v109, 0x3f167918, v108
	v_add_f32_e32 v48, v81, v48
	v_add_f32_e32 v38, v75, v38
	v_fma_f32 v68, -0.5, v71, v105
	v_add_f32_e32 v71, v105, v39
	v_fmac_f32_e32 v109, 0x3e9e377a, v110
	s_delay_alu instid0(VALU_DEP_1)
	v_add_f32_e32 v120, v109, v111
	v_sub_f32_e32 v8, v80, v19
	v_add_nc_u32_e32 v80, 0x800, v119
	ds_store_2addr_b32 v80, v10, v8 offset0:88 offset1:163
	global_wb scope:SCOPE_SE
	s_wait_dscnt 0x0
	s_barrier_signal -1
	s_barrier_wait -1
	global_inv scope:SCOPE_SE
	ds_load_2addr_b32 v[8:9], v86 offset1:125
	ds_load_2addr_b32 v[10:11], v87 offset0:110 offset1:235
	ds_load_2addr_b32 v[16:17], v90 offset0:92 offset1:217
	;; [unrolled: 1-line block ×14, first 2 shown]
	global_wb scope:SCOPE_SE
	s_wait_dscnt 0x0
	s_barrier_signal -1
	s_barrier_wait -1
	global_inv scope:SCOPE_SE
	ds_store_2addr_b32 v146, v72, v120 offset1:75
	v_add_f32_e32 v72, v39, v51
	s_delay_alu instid0(VALU_DEP_1) | instskip(NEXT) | instid1(VALU_DEP_1)
	v_dual_sub_f32 v120, v41, v39 :: v_dual_fmac_f32 v105, -0.5, v72
	v_add_f32_e32 v72, v120, v121
	v_dual_add_f32 v120, v3, v40 :: v_dual_add_f32 v121, v0, v43
	s_delay_alu instid0(VALU_DEP_1) | instskip(SKIP_1) | instid1(VALU_DEP_3)
	v_fma_f32 v67, -0.5, v120, v2
	v_add_f32_e32 v120, v2, v0
	v_dual_fmac_f32 v2, -0.5, v121 :: v_dual_sub_f32 v121, v40, v43
	v_fmamk_f32 v69, v108, 0xbf737871, v104
	v_dual_fmac_f32 v104, 0x3f737871, v108 :: v_dual_fmac_f32 v53, 0x3f737871, v49
	s_delay_alu instid0(VALU_DEP_3)
	v_dual_fmamk_f32 v123, v64, 0xbf737871, v2 :: v_dual_add_f32 v44, v70, v121
	v_sub_f32_e32 v70, v109, v111
	v_fmamk_f32 v122, v63, 0xbf737871, v105
	v_fmac_f32_e32 v105, 0x3f737871, v63
	v_fmac_f32_e32 v104, 0xbf167918, v103
	;; [unrolled: 1-line block ×3, first 2 shown]
	v_sub_f32_e32 v0, v0, v3
	v_fmac_f32_e32 v122, 0x3f167918, v62
	v_fmac_f32_e32 v105, 0xbf167918, v62
	v_sub_f32_e32 v39, v39, v41
	v_fmac_f32_e32 v104, 0x3e9e377a, v65
	s_delay_alu instid0(VALU_DEP_4) | instskip(NEXT) | instid1(VALU_DEP_4)
	v_fmac_f32_e32 v122, 0x3e9e377a, v72
	v_fmac_f32_e32 v105, 0x3e9e377a, v72
	;; [unrolled: 1-line block ×4, first 2 shown]
	v_fmamk_f32 v103, v62, 0x3f737871, v68
	s_delay_alu instid0(VALU_DEP_4) | instskip(SKIP_2) | instid1(VALU_DEP_4)
	v_dual_fmac_f32 v68, 0xbf737871, v62 :: v_dual_add_f32 v47, v105, v52
	v_add_f32_e32 v71, v71, v41
	v_dual_sub_f32 v41, v51, v46 :: v_dual_sub_f32 v52, v105, v52
	v_fmac_f32_e32 v103, 0x3f167918, v63
	s_delay_alu instid0(VALU_DEP_4) | instskip(NEXT) | instid1(VALU_DEP_4)
	v_fmac_f32_e32 v68, 0xbf167918, v63
	v_add_f32_e32 v46, v71, v46
	s_delay_alu instid0(VALU_DEP_4) | instskip(SKIP_2) | instid1(VALU_DEP_4)
	v_add_f32_e32 v39, v39, v41
	v_dual_add_f32 v41, v48, v54 :: v_dual_mul_f32 v48, 0x3e9e377a, v84
	v_add_f32_e32 v63, v120, v3
	v_add_f32_e32 v46, v46, v51
	v_fmac_f32_e32 v2, 0xbf167918, v57
	v_fmac_f32_e32 v69, 0x3e9e377a, v65
	;; [unrolled: 1-line block ×4, first 2 shown]
	v_mul_f32_e32 v39, 0x3f4f1bbd, v116
	s_delay_alu instid0(VALU_DEP_4)
	v_dual_fmac_f32 v2, 0x3e9e377a, v44 :: v_dual_add_f32 v49, v69, v66
	v_add_f32_e32 v65, v104, v53
	v_dual_sub_f32 v53, v104, v53 :: v_dual_fmac_f32 v48, 0x3f737871, v82
	v_mul_f32_e32 v51, 0xbf4f1bbd, v79
	v_add_f32_e32 v41, v41, v58
	ds_store_2addr_b32 v146, v49, v65 offset0:150 offset1:225
	v_add_f32_e32 v65, v2, v50
	v_mul_f32_e32 v49, 0xbf4f1bbd, v133
	v_dual_fmac_f32 v39, 0x3f167918, v115 :: v_dual_add_f32 v58, v122, v48
	v_fmac_f32_e32 v107, 0xbf167918, v108
	v_fmac_f32_e32 v123, 0x3f167918, v57
	v_add_f32_e32 v54, v46, v41
	s_delay_alu instid0(VALU_DEP_4)
	v_dual_sub_f32 v41, v46, v41 :: v_dual_add_f32 v46, v103, v39
	v_sub_f32_e32 v48, v122, v48
	v_fmac_f32_e32 v49, 0x3f167918, v136
	v_fmac_f32_e32 v123, 0x3e9e377a, v44
	;; [unrolled: 1-line block ×4, first 2 shown]
	v_dual_sub_f32 v66, v69, v66 :: v_dual_sub_f32 v3, v43, v40
	v_sub_f32_e32 v2, v2, v50
	s_delay_alu instid0(VALU_DEP_3)
	v_dual_add_f32 v62, v68, v51 :: v_dual_add_f32 v69, v107, v49
	v_dual_sub_f32 v51, v68, v51 :: v_dual_fmamk_f32 v68, v57, 0x3f737871, v67
	v_fmac_f32_e32 v67, 0xbf737871, v57
	v_dual_sub_f32 v49, v107, v49 :: v_dual_add_f32 v0, v0, v3
	v_add_f32_e32 v3, v38, v42
	v_mul_f32_e32 v42, 0xbf4f1bbd, v74
	s_delay_alu instid0(VALU_DEP_4) | instskip(SKIP_1) | instid1(VALU_DEP_4)
	v_fmac_f32_e32 v67, 0xbf167918, v64
	v_fmac_f32_e32 v68, 0x3f167918, v64
	v_dual_sub_f32 v50, v113, v112 :: v_dual_add_f32 v3, v3, v45
	s_delay_alu instid0(VALU_DEP_4) | instskip(NEXT) | instid1(VALU_DEP_4)
	v_fmac_f32_e32 v42, 0x3f167918, v73
	v_fmac_f32_e32 v67, 0x3e9e377a, v0
	s_delay_alu instid0(VALU_DEP_4) | instskip(NEXT) | instid1(VALU_DEP_2)
	v_fmac_f32_e32 v68, 0x3e9e377a, v0
	v_dual_mul_f32 v0, 0x3e9e377a, v76 :: v_dual_add_f32 v45, v67, v42
	v_sub_f32_e32 v42, v67, v42
	v_add_f32_e32 v40, v63, v40
	s_delay_alu instid0(VALU_DEP_3) | instskip(NEXT) | instid1(VALU_DEP_2)
	v_fmac_f32_e32 v0, 0x3f737871, v77
	v_add_f32_e32 v38, v40, v43
	s_delay_alu instid0(VALU_DEP_1) | instskip(NEXT) | instid1(VALU_DEP_1)
	v_dual_mul_f32 v40, 0x3f4f1bbd, v114 :: v_dual_add_f32 v43, v38, v3
	v_fmac_f32_e32 v40, 0x3f167918, v83
	s_delay_alu instid0(VALU_DEP_4) | instskip(SKIP_1) | instid1(VALU_DEP_3)
	v_dual_sub_f32 v3, v38, v3 :: v_dual_add_f32 v38, v123, v0
	v_sub_f32_e32 v0, v123, v0
	v_dual_add_f32 v44, v68, v40 :: v_dual_sub_f32 v39, v103, v39
	v_sub_f32_e32 v40, v68, v40
	ds_store_2addr_b32 v134, v69, v50 offset0:44 offset1:119
	ds_store_2addr_b32 v137, v70, v66 offset0:66 offset1:141
	;; [unrolled: 1-line block ×3, first 2 shown]
	ds_store_2addr_b32 v126, v54, v46 offset1:75
	ds_store_2addr_b32 v126, v58, v47 offset0:150 offset1:225
	ds_store_2addr_b32 v117, v62, v41 offset0:44 offset1:119
	;; [unrolled: 1-line block ×4, first 2 shown]
	ds_store_2addr_b32 v119, v43, v44 offset1:75
	ds_store_2addr_b32 v119, v38, v65 offset0:150 offset1:225
	ds_store_2addr_b32 v101, v45, v3 offset0:44 offset1:119
	;; [unrolled: 1-line block ×4, first 2 shown]
	global_wb scope:SCOPE_SE
	s_wait_dscnt 0x0
	s_barrier_signal -1
	s_barrier_wait -1
	global_inv scope:SCOPE_SE
	s_and_saveexec_b32 s0, vcc_lo
	s_cbranch_execz .LBB0_15
; %bb.14:
	v_lshlrev_b32_e32 v0, 2, v61
	v_mul_lo_u32 v82, s3, v6
	v_mul_lo_u32 v83, s2, v7
	v_mad_co_u64_u32 v[38:39], null, s2, v6, 0
	s_delay_alu instid0(VALU_DEP_4) | instskip(SKIP_1) | instid1(VALU_DEP_3)
	v_lshlrev_b64_e32 v[2:3], 3, v[0:1]
	v_lshlrev_b64_e32 v[4:5], 3, v[4:5]
	v_add3_u32 v39, v39, v83, v82
	s_delay_alu instid0(VALU_DEP_3) | instskip(SKIP_1) | instid1(VALU_DEP_4)
	v_add_co_u32 v2, vcc_lo, s8, v2
	s_wait_alu 0xfffd
	v_add_co_ci_u32_e32 v3, vcc_lo, s9, v3, vcc_lo
	s_clause 0x1
	global_load_b128 v[40:43], v[2:3], off offset:5976
	global_load_b128 v[44:47], v[2:3], off offset:5992
	v_lshlrev_b32_e32 v0, 2, v60
	s_delay_alu instid0(VALU_DEP_1) | instskip(SKIP_1) | instid1(VALU_DEP_2)
	v_lshlrev_b64_e32 v[2:3], 3, v[0:1]
	v_lshlrev_b32_e32 v0, 2, v59
	v_add_co_u32 v2, vcc_lo, s8, v2
	s_wait_alu 0xfffd
	s_delay_alu instid0(VALU_DEP_3)
	v_add_co_ci_u32_e32 v3, vcc_lo, s9, v3, vcc_lo
	s_clause 0x1
	global_load_b128 v[48:51], v[2:3], off offset:5976
	global_load_b128 v[60:63], v[2:3], off offset:5992
	v_lshlrev_b64_e32 v[2:3], 3, v[0:1]
	v_lshlrev_b32_e32 v0, 2, v56
	s_delay_alu instid0(VALU_DEP_2) | instskip(SKIP_1) | instid1(VALU_DEP_3)
	v_add_co_u32 v2, vcc_lo, s8, v2
	s_wait_alu 0xfffd
	v_add_co_ci_u32_e32 v3, vcc_lo, s9, v3, vcc_lo
	s_clause 0x1
	global_load_b128 v[64:67], v[2:3], off offset:5976
	global_load_b128 v[68:71], v[2:3], off offset:5992
	v_lshlrev_b64_e32 v[2:3], 3, v[0:1]
	v_lshlrev_b32_e32 v0, 2, v55
	s_delay_alu instid0(VALU_DEP_2) | instskip(SKIP_1) | instid1(VALU_DEP_3)
	v_add_co_u32 v2, vcc_lo, s8, v2
	s_wait_alu 0xfffd
	v_add_co_ci_u32_e32 v3, vcc_lo, s9, v3, vcc_lo
	s_clause 0x1
	global_load_b128 v[56:59], v[2:3], off offset:5976
	global_load_b128 v[72:75], v[2:3], off offset:5992
	v_lshlrev_b64_e32 v[2:3], 3, v[0:1]
	s_delay_alu instid0(VALU_DEP_1) | instskip(SKIP_1) | instid1(VALU_DEP_2)
	v_add_co_u32 v2, vcc_lo, s8, v2
	s_wait_alu 0xfffd
	v_add_co_ci_u32_e32 v3, vcc_lo, s9, v3, vcc_lo
	s_clause 0x1
	global_load_b128 v[52:55], v[2:3], off offset:5976
	global_load_b128 v[76:79], v[2:3], off offset:5992
	ds_load_2addr_b32 v[2:3], v98 offset0:80 offset1:205
	ds_load_2addr_b32 v[6:7], v97 offset0:98 offset1:223
	;; [unrolled: 1-line block ×4, first 2 shown]
	v_lshlrev_b32_e32 v0, 2, v85
	ds_load_2addr_b32 v[101:102], v96 offset0:116 offset1:241
	ds_load_2addr_b32 v[103:104], v94 offset0:86 offset1:211
	;; [unrolled: 1-line block ×10, first 2 shown]
	ds_load_2addr_b32 v[117:118], v86 offset1:125
	v_lshlrev_b64_e32 v[80:81], 3, v[0:1]
	s_delay_alu instid0(VALU_DEP_1) | instskip(SKIP_1) | instid1(VALU_DEP_2)
	v_add_co_u32 v111, vcc_lo, s8, v80
	s_wait_alu 0xfffd
	v_add_co_ci_u32_e32 v112, vcc_lo, s9, v81, vcc_lo
	s_clause 0x1
	global_load_b128 v[80:83], v[111:112], off offset:5992
	global_load_b128 v[86:89], v[111:112], off offset:5976
	s_wait_loadcnt 0xa
	v_dual_mul_f32 v96, v35, v45 :: v_dual_mul_f32 v111, v37, v47
	s_wait_dscnt 0xc
	v_dual_mul_f32 v45, v98, v45 :: v_dual_mul_f32 v0, v33, v43
	v_mul_f32_e32 v43, v3, v43
	s_wait_dscnt 0xb
	v_dual_mul_f32 v47, v100, v47 :: v_dual_mul_f32 v84, v31, v41
	v_mul_f32_e32 v41, v7, v41
	v_fmac_f32_e32 v45, v35, v44
	v_fma_f32 v0, v42, v3, -v0
	s_delay_alu instid0(VALU_DEP_4) | instskip(SKIP_2) | instid1(VALU_DEP_3)
	v_fmac_f32_e32 v47, v37, v46
	v_fma_f32 v3, v40, v7, -v84
	v_fmac_f32_e32 v43, v33, v42
	v_dual_fmac_f32 v41, v31, v40 :: v_dual_sub_f32 v120, v45, v47
	s_wait_dscnt 0xa
	s_delay_alu instid0(VALU_DEP_3)
	v_add_f32_e32 v112, v3, v102
	s_wait_loadcnt 0x9
	v_dual_add_f32 v126, v43, v45 :: v_dual_mul_f32 v7, v32, v51
	s_wait_loadcnt 0x8
	v_mul_f32_e32 v40, v97, v61
	v_fma_f32 v84, v44, v98, -v96
	v_fma_f32 v96, v46, v100, -v111
	v_dual_mul_f32 v31, v30, v49 :: v_dual_mul_f32 v44, v99, v63
	v_dual_mul_f32 v33, v34, v61 :: v_dual_sub_f32 v46, v0, v3
	v_dual_mul_f32 v35, v36, v63 :: v_dual_mul_f32 v42, v6, v49
	v_dual_mul_f32 v37, v2, v51 :: v_dual_sub_f32 v98, v3, v0
	v_sub_f32_e32 v49, v84, v96
	v_sub_f32_e32 v63, v41, v47
	v_dual_add_f32 v111, v0, v84 :: v_dual_add_f32 v122, v41, v47
	v_dual_sub_f32 v119, v43, v41 :: v_dual_sub_f32 v124, v41, v43
	v_dual_sub_f32 v121, v3, v96 :: v_dual_fmac_f32 v44, v36, v62
	v_dual_sub_f32 v125, v47, v45 :: v_dual_fmac_f32 v40, v34, v60
	v_dual_add_f32 v41, v29, v41 :: v_dual_fmac_f32 v42, v30, v48
	v_fma_f32 v127, v50, v2, -v7
	v_fma_f32 v31, v48, v6, -v31
	;; [unrolled: 1-line block ×4, first 2 shown]
	s_wait_loadcnt 0x7
	v_dual_fmac_f32 v37, v32, v50 :: v_dual_mul_f32 v32, v21, v65
	s_wait_loadcnt_dscnt 0x607
	v_mul_f32_e32 v50, v95, v69
	s_wait_dscnt 0x6
	v_dual_mul_f32 v62, v93, v71 :: v_dual_sub_f32 v51, v43, v45
	v_sub_f32_e32 v100, v96, v84
	v_add_f32_e32 v61, v3, v96
	v_dual_sub_f32 v123, v0, v84 :: v_dual_mul_f32 v30, v25, v67
	v_dual_mul_f32 v33, v27, v69 :: v_dual_mul_f32 v48, v104, v67
	v_mul_f32_e32 v34, v23, v71
	v_mul_f32_e32 v60, v106, v65
	v_fma_f32 v7, -0.5, v111, v102
	v_dual_add_f32 v0, v0, v112 :: v_dual_add_f32 v35, v43, v41
	v_fma_f32 v2, -0.5, v122, v29
	v_add_f32_e32 v65, v124, v125
	v_fma_f32 v6, -0.5, v126, v29
	v_sub_f32_e32 v41, v97, v99
	v_dual_add_f32 v43, v31, v99 :: v_dual_sub_f32 v112, v40, v44
	v_sub_f32_e32 v122, v127, v97
	v_add_f32_e32 v126, v37, v40
	v_fmac_f32_e32 v50, v27, v68
	s_wait_loadcnt 0x5
	v_dual_fmac_f32 v62, v23, v70 :: v_dual_mul_f32 v23, v20, v57
	s_wait_loadcnt 0x4
	v_mul_f32_e32 v27, v22, v75
	v_dual_add_f32 v46, v46, v49 :: v_dual_sub_f32 v67, v37, v40
	v_fma_f32 v3, -0.5, v61, v102
	v_add_f32_e32 v49, v98, v100
	v_add_f32_e32 v61, v119, v120
	v_dual_sub_f32 v36, v127, v31 :: v_dual_sub_f32 v69, v42, v44
	v_dual_sub_f32 v71, v31, v127 :: v_dual_add_f32 v120, v42, v44
	v_dual_sub_f32 v98, v99, v97 :: v_dual_sub_f32 v111, v37, v42
	v_dual_add_f32 v100, v127, v97 :: v_dual_sub_f32 v125, v44, v40
	v_add_f32_e32 v102, v31, v101
	v_dual_sub_f32 v119, v31, v99 :: v_dual_sub_f32 v124, v42, v37
	v_add_f32_e32 v42, v28, v42
	v_fma_f32 v104, v66, v104, -v30
	v_fma_f32 v106, v64, v106, -v32
	;; [unrolled: 1-line block ×4, first 2 shown]
	v_fmac_f32_e32 v48, v25, v66
	v_dual_fmac_f32 v60, v21, v64 :: v_dual_mul_f32 v21, v24, v59
	v_mul_f32_e32 v25, v26, v73
	v_dual_mul_f32 v59, v103, v59 :: v_dual_mul_f32 v64, v94, v73
	v_fmamk_f32 v31, v123, 0xbf737871, v2
	v_dual_mul_f32 v57, v105, v57 :: v_dual_mul_f32 v66, v92, v75
	v_fmamk_f32 v29, v121, 0x3f737871, v6
	v_fmamk_f32 v30, v63, 0xbf737871, v7
	v_fmac_f32_e32 v7, 0x3f737871, v63
	v_fma_f32 v34, -0.5, v43, v101
	v_fma_f32 v105, v56, v105, -v23
	v_fma_f32 v92, v74, v92, -v27
	v_dual_fmamk_f32 v32, v51, 0x3f737871, v3 :: v_dual_add_f32 v73, v124, v125
	v_dual_fmac_f32 v3, 0xbf737871, v51 :: v_dual_add_f32 v0, v84, v0
	v_dual_add_f32 v45, v35, v45 :: v_dual_fmac_f32 v2, 0x3f737871, v123
	v_fmac_f32_e32 v6, 0xbf737871, v121
	s_delay_alu instid0(VALU_DEP_3)
	v_dual_add_f32 v68, v36, v41 :: v_dual_fmac_f32 v3, 0x3f167918, v63
	v_dual_add_f32 v70, v71, v98 :: v_dual_add_f32 v43, v106, v93
	v_fma_f32 v36, -0.5, v100, v101
	v_add_f32_e32 v41, v127, v102
	v_add_f32_e32 v71, v111, v112
	v_fma_f32 v33, -0.5, v120, v28
	v_fma_f32 v35, -0.5, v126, v28
	v_dual_add_f32 v28, v37, v42 :: v_dual_add_f32 v101, v104, v95
	v_dual_sub_f32 v37, v104, v106 :: v_dual_sub_f32 v42, v95, v93
	v_sub_f32_e32 v75, v48, v50
	s_wait_loadcnt 0x3
	v_dual_sub_f32 v84, v60, v62 :: v_dual_mul_f32 v27, v11, v53
	v_dual_sub_f32 v98, v106, v104 :: v_dual_add_f32 v127, v48, v50
	v_dual_sub_f32 v100, v93, v95 :: v_dual_sub_f32 v111, v48, v60
	s_wait_dscnt 0x5
	v_dual_add_f32 v102, v106, v108 :: v_dual_fmac_f32 v59, v24, v58
	v_dual_sub_f32 v112, v50, v62 :: v_dual_sub_f32 v125, v60, v48
	v_dual_sub_f32 v106, v106, v93 :: v_dual_fmac_f32 v57, v20, v56
	v_add_f32_e32 v120, v60, v62
	v_sub_f32_e32 v126, v62, v50
	v_dual_add_f32 v60, v19, v60 :: v_dual_fmac_f32 v7, 0x3f167918, v51
	v_fma_f32 v103, v58, v103, -v21
	v_fma_f32 v94, v72, v94, -v25
	v_dual_fmac_f32 v64, v26, v72 :: v_dual_fmac_f32 v29, 0x3f167918, v123
	v_dual_fmac_f32 v66, v22, v74 :: v_dual_add_f32 v21, v96, v0
	v_dual_mul_f32 v26, v17, v55 :: v_dual_fmamk_f32 v25, v67, 0x3f737871, v34
	s_wait_loadcnt 0x2
	v_mul_f32_e32 v58, v13, v79
	s_wait_dscnt 0x4
	v_dual_mul_f32 v72, v91, v55 :: v_dual_add_f32 v37, v37, v42
	v_dual_fmac_f32 v30, 0xbf167918, v51 :: v_dual_add_f32 v51, v104, v102
	v_dual_fmac_f32 v34, 0xbf737871, v67 :: v_dual_add_f32 v55, v105, v92
	v_dual_sub_f32 v124, v104, v95 :: v_dual_fmac_f32 v31, 0x3f167918, v121
	v_dual_mul_f32 v56, v15, v77 :: v_dual_fmamk_f32 v23, v69, 0xbf737871, v36
	s_wait_dscnt 0x2
	v_mul_f32_e32 v74, v114, v77
	v_mul_f32_e32 v77, v110, v53
	s_wait_dscnt 0x1
	v_mul_f32_e32 v79, v116, v79
	v_dual_fmac_f32 v32, 0xbf167918, v63 :: v_dual_add_f32 v63, v98, v100
	v_fmac_f32_e32 v2, 0xbf167918, v121
	v_fmac_f32_e32 v6, 0xbf167918, v123
	v_dual_add_f32 v20, v45, v47 :: v_dual_sub_f32 v53, v94, v92
	v_add_f32_e32 v0, v97, v41
	v_fmamk_f32 v24, v122, 0xbf737871, v33
	v_fmac_f32_e32 v33, 0x3f737871, v122
	v_dual_fmamk_f32 v22, v119, 0x3f737871, v35 :: v_dual_sub_f32 v121, v57, v59
	v_add_f32_e32 v28, v28, v40
	v_fma_f32 v41, -0.5, v43, v108
	v_fma_f32 v43, -0.5, v101, v108
	v_dual_add_f32 v96, v111, v112 :: v_dual_fmac_f32 v79, v13, v78
	v_fma_f32 v40, -0.5, v120, v19
	v_add_f32_e32 v97, v125, v126
	v_fma_f32 v42, -0.5, v127, v19
	v_dual_add_f32 v19, v48, v60 :: v_dual_sub_f32 v48, v103, v105
	v_sub_f32_e32 v123, v66, v64
	v_dual_sub_f32 v60, v59, v64 :: v_dual_fmac_f32 v3, 0x3e9e377a, v46
	v_dual_sub_f32 v98, v57, v66 :: v_dual_add_f32 v125, v59, v64
	v_dual_add_f32 v102, v103, v94 :: v_dual_fmac_f32 v7, 0x3e9e377a, v49
	v_dual_add_f32 v104, v105, v107 :: v_dual_fmac_f32 v31, 0x3e9e377a, v61
	v_dual_sub_f32 v108, v59, v57 :: v_dual_fmac_f32 v23, 0xbf167918, v67
	v_dual_add_f32 v112, v57, v66 :: v_dual_fmac_f32 v29, 0x3e9e377a, v65
	v_add_f32_e32 v57, v18, v57
	v_fma_f32 v110, v52, v110, -v27
	v_fma_f32 v116, v78, v116, -v58
	v_fmac_f32_e32 v30, 0x3e9e377a, v49
	v_fma_f32 v49, -0.5, v55, v107
	v_dual_fmac_f32 v36, 0x3f737871, v69 :: v_dual_sub_f32 v101, v92, v94
	v_fmac_f32_e32 v35, 0xbf737871, v119
	v_dual_sub_f32 v100, v105, v103 :: v_dual_fmac_f32 v77, v11, v52
	v_sub_f32_e32 v111, v64, v66
	v_dual_sub_f32 v105, v105, v92 :: v_dual_sub_f32 v120, v103, v94
	v_fmac_f32_e32 v25, 0xbf167918, v69
	v_fma_f32 v91, v54, v91, -v26
	v_fma_f32 v114, v76, v114, -v56
	v_dual_fmac_f32 v72, v17, v54 :: v_dual_add_f32 v27, v99, v0
	v_dual_fmac_f32 v74, v15, v76 :: v_dual_fmac_f32 v33, 0xbf167918, v119
	v_dual_fmac_f32 v32, 0x3e9e377a, v46 :: v_dual_add_f32 v13, v48, v53
	v_fmac_f32_e32 v2, 0x3e9e377a, v61
	v_dual_fmac_f32 v24, 0x3f167918, v119 :: v_dual_add_f32 v57, v59, v57
	v_dual_fmac_f32 v22, 0x3f167918, v122 :: v_dual_add_f32 v61, v110, v116
	v_dual_fmamk_f32 v47, v84, 0xbf737871, v43 :: v_dual_add_f32 v0, v95, v51
	v_dual_fmac_f32 v43, 0x3f737871, v84 :: v_dual_fmamk_f32 v46, v106, 0x3f737871, v42
	v_add_f32_e32 v11, v19, v50
	v_fma_f32 v51, -0.5, v102, v107
	v_add_f32_e32 v19, v103, v104
	v_fma_f32 v48, -0.5, v112, v18
	v_fma_f32 v50, -0.5, v125, v18
	v_fmamk_f32 v53, v60, 0x3f737871, v49
	v_fmac_f32_e32 v49, 0xbf737871, v60
	v_dual_fmac_f32 v6, 0x3e9e377a, v65 :: v_dual_sub_f32 v59, v114, v116
	v_fmac_f32_e32 v34, 0x3f167918, v69
	v_dual_fmac_f32 v36, 0x3f167918, v67 :: v_dual_add_f32 v15, v100, v101
	v_dual_fmac_f32 v35, 0xbf167918, v122 :: v_dual_add_f32 v26, v28, v44
	v_fmamk_f32 v45, v75, 0x3f737871, v41
	v_dual_fmac_f32 v41, 0xbf737871, v75 :: v_dual_fmamk_f32 v44, v124, 0xbf737871, v40
	v_dual_fmac_f32 v42, 0xbf737871, v106 :: v_dual_sub_f32 v69, v77, v79
	v_dual_add_f32 v28, v108, v111 :: v_dual_add_f32 v65, v91, v114
	v_dual_sub_f32 v58, v91, v110 :: v_dual_fmac_f32 v33, 0x3e9e377a, v71
	v_dual_sub_f32 v67, v72, v74 :: v_dual_fmac_f32 v24, 0x3e9e377a, v71
	v_dual_add_f32 v17, v11, v62 :: v_dual_fmac_f32 v22, 0x3e9e377a, v73
	v_add_f32_e32 v11, v57, v64
	v_dual_fmac_f32 v47, 0xbf167918, v75 :: v_dual_add_f32 v18, v93, v0
	v_dual_fmac_f32 v43, 0x3f167918, v75 :: v_dual_fmac_f32 v46, 0x3f167918, v124
	v_fmamk_f32 v55, v98, 0xbf737871, v51
	v_dual_fmac_f32 v51, 0x3f737871, v98 :: v_dual_add_f32 v0, v94, v19
	v_fmamk_f32 v52, v120, 0xbf737871, v48
	v_fmac_f32_e32 v48, 0x3f737871, v120
	v_fmamk_f32 v54, v105, 0x3f737871, v50
	s_wait_dscnt 0x0
	v_fma_f32 v57, -0.5, v61, v118
	v_add_f32_e32 v61, v92, v0
	v_dual_fmac_f32 v53, 0xbf167918, v98 :: v_dual_fmac_f32 v48, 0xbf167918, v105
	v_dual_fmac_f32 v49, 0x3f167918, v98 :: v_dual_fmac_f32 v52, 0x3f167918, v105
	v_fmac_f32_e32 v40, 0x3f737871, v124
	v_fmac_f32_e32 v45, 0xbf167918, v84
	v_dual_fmac_f32 v41, 0x3f167918, v84 :: v_dual_fmac_f32 v44, 0x3f167918, v106
	v_dual_fmac_f32 v42, 0xbf167918, v124 :: v_dual_add_f32 v19, v58, v59
	v_fmac_f32_e32 v50, 0xbf737871, v105
	v_fma_f32 v59, -0.5, v65, v118
	v_dual_fmac_f32 v47, 0x3e9e377a, v63 :: v_dual_fmac_f32 v46, 0x3e9e377a, v97
	s_delay_alu instid0(VALU_DEP_4)
	v_dual_fmac_f32 v43, 0x3e9e377a, v63 :: v_dual_fmac_f32 v42, 0x3e9e377a, v97
	v_fmac_f32_e32 v55, 0xbf167918, v60
	v_dual_fmac_f32 v51, 0x3f167918, v60 :: v_dual_sub_f32 v0, v110, v91
	v_fmac_f32_e32 v54, 0x3f167918, v120
	v_add_f32_e32 v60, v11, v66
	v_sub_f32_e32 v11, v116, v114
	v_fmamk_f32 v63, v67, 0x3f737871, v57
	v_dual_fmac_f32 v53, 0x3e9e377a, v13 :: v_dual_fmac_f32 v52, 0x3e9e377a, v28
	v_dual_fmac_f32 v49, 0x3e9e377a, v13 :: v_dual_fmac_f32 v48, 0x3e9e377a, v28
	v_dual_add_f32 v13, v110, v118 :: v_dual_add_f32 v56, v121, v123
	v_fmac_f32_e32 v25, 0x3e9e377a, v68
	v_fmac_f32_e32 v40, 0xbf167918, v106
	v_dual_fmac_f32 v45, 0x3e9e377a, v37 :: v_dual_fmac_f32 v44, 0x3e9e377a, v96
	v_fmac_f32_e32 v41, 0x3e9e377a, v37
	v_dual_fmac_f32 v55, 0x3e9e377a, v15 :: v_dual_fmac_f32 v54, 0x3e9e377a, v56
	v_dual_fmamk_f32 v65, v69, 0xbf737871, v59 :: v_dual_sub_f32 v28, v74, v79
	v_add_f32_e32 v0, v0, v11
	v_dual_fmac_f32 v50, 0xbf167918, v120 :: v_dual_fmac_f32 v63, 0xbf167918, v69
	v_fmac_f32_e32 v51, 0x3e9e377a, v15
	v_add_f32_e32 v11, v91, v13
	v_sub_f32_e32 v15, v72, v77
	v_sub_f32_e32 v37, v110, v116
	v_dual_add_f32 v13, v77, v79 :: v_dual_fmac_f32 v50, 0x3e9e377a, v56
	v_dual_fmac_f32 v34, 0x3e9e377a, v68 :: v_dual_fmac_f32 v23, 0x3e9e377a, v70
	s_delay_alu instid0(VALU_DEP_4) | instskip(NEXT) | instid1(VALU_DEP_3)
	v_add_f32_e32 v15, v15, v28
	v_fma_f32 v56, -0.5, v13, v9
	v_fmac_f32_e32 v57, 0xbf737871, v67
	v_add_f32_e32 v13, v72, v74
	v_dual_fmac_f32 v36, 0x3e9e377a, v70 :: v_dual_fmac_f32 v35, 0x3e9e377a, v73
	v_dual_fmac_f32 v63, 0x3e9e377a, v19 :: v_dual_sub_f32 v66, v79, v74
	s_delay_alu instid0(VALU_DEP_3) | instskip(SKIP_3) | instid1(VALU_DEP_3)
	v_fma_f32 v58, -0.5, v13, v9
	s_wait_loadcnt 0x1
	v_dual_sub_f32 v13, v77, v72 :: v_dual_mul_f32 v70, v115, v83
	v_fmac_f32_e32 v57, 0x3f167918, v69
	v_dual_fmac_f32 v59, 0x3f737871, v69 :: v_dual_fmamk_f32 v64, v37, 0x3f737871, v58
	s_delay_alu instid0(VALU_DEP_3) | instskip(NEXT) | instid1(VALU_DEP_3)
	v_dual_add_f32 v28, v13, v66 :: v_dual_mul_f32 v13, v12, v83
	v_fmac_f32_e32 v57, 0x3e9e377a, v19
	v_sub_f32_e32 v19, v91, v114
	s_delay_alu instid0(VALU_DEP_4) | instskip(NEXT) | instid1(VALU_DEP_4)
	v_dual_fmac_f32 v59, 0x3f167918, v67 :: v_dual_mul_f32 v68, v113, v81
	v_fma_f32 v66, v82, v115, -v13
	s_delay_alu instid0(VALU_DEP_3)
	v_dual_mul_f32 v13, v14, v81 :: v_dual_fmamk_f32 v62, v19, 0xbf737871, v56
	v_fmac_f32_e32 v56, 0x3f737871, v19
	v_fmac_f32_e32 v65, 0xbf167918, v67
	;; [unrolled: 1-line block ×6, first 2 shown]
	s_wait_loadcnt 0x0
	v_dual_fmac_f32 v65, 0x3e9e377a, v0 :: v_dual_mul_f32 v0, v10, v87
	v_fmac_f32_e32 v64, 0x3f167918, v19
	v_fmac_f32_e32 v62, 0x3e9e377a, v15
	v_dual_fmac_f32 v56, 0x3e9e377a, v15 :: v_dual_add_f32 v9, v9, v77
	v_fmac_f32_e32 v70, v12, v82
	v_fma_f32 v0, v86, v109, -v0
	v_fmac_f32_e32 v64, 0x3e9e377a, v28
	v_fmac_f32_e32 v40, 0x3e9e377a, v96
	s_delay_alu instid0(VALU_DEP_3) | instskip(SKIP_2) | instid1(VALU_DEP_2)
	v_dual_add_f32 v14, v0, v66 :: v_dual_add_f32 v11, v114, v11
	v_fmac_f32_e32 v58, 0xbf737871, v37
	v_mul_f32_e32 v15, v16, v89
	v_dual_mul_f32 v37, v90, v89 :: v_dual_fmac_f32 v58, 0xbf167918, v19
	s_delay_alu instid0(VALU_DEP_2) | instskip(NEXT) | instid1(VALU_DEP_2)
	v_fma_f32 v69, v88, v90, -v15
	v_dual_add_f32 v11, v116, v11 :: v_dual_fmac_f32 v58, 0x3e9e377a, v28
	v_fma_f32 v71, v80, v113, -v13
	v_fma_f32 v13, -0.5, v14, v117
	v_add_f32_e32 v28, v0, v117
	s_delay_alu instid0(VALU_DEP_3) | instskip(SKIP_1) | instid1(VALU_DEP_3)
	v_dual_sub_f32 v12, v71, v66 :: v_dual_add_f32 v9, v72, v9
	v_add_f32_e32 v19, v69, v71
	v_add_f32_e32 v28, v69, v28
	v_sub_f32_e32 v72, v69, v71
	s_delay_alu instid0(VALU_DEP_4) | instskip(SKIP_1) | instid1(VALU_DEP_4)
	v_add_f32_e32 v9, v9, v74
	v_dual_fmac_f32 v37, v16, v88 :: v_dual_mul_f32 v16, v109, v87
	v_add_f32_e32 v28, v71, v28
	s_delay_alu instid0(VALU_DEP_2) | instskip(SKIP_1) | instid1(VALU_DEP_2)
	v_fmac_f32_e32 v16, v10, v86
	v_sub_f32_e32 v10, v69, v0
	v_sub_f32_e32 v14, v16, v70
	s_delay_alu instid0(VALU_DEP_2) | instskip(SKIP_2) | instid1(VALU_DEP_1)
	v_add_f32_e32 v12, v10, v12
	v_add_f32_e32 v10, v9, v79
	v_sub_f32_e32 v73, v37, v68
	v_fmamk_f32 v15, v73, 0x3f737871, v13
	v_fmac_f32_e32 v13, 0xbf737871, v73
	s_delay_alu instid0(VALU_DEP_2) | instskip(NEXT) | instid1(VALU_DEP_2)
	v_fmac_f32_e32 v15, 0xbf167918, v14
	v_fmac_f32_e32 v13, 0x3f167918, v14
	s_delay_alu instid0(VALU_DEP_2) | instskip(NEXT) | instid1(VALU_DEP_2)
	v_fmac_f32_e32 v15, 0x3e9e377a, v12
	v_dual_fmac_f32 v13, 0x3e9e377a, v12 :: v_dual_sub_f32 v12, v0, v69
	v_sub_f32_e32 v0, v0, v66
	v_fma_f32 v9, -0.5, v19, v117
	v_sub_f32_e32 v19, v66, v71
	v_sub_f32_e32 v71, v37, v16
	v_dual_add_f32 v69, v66, v28 :: v_dual_sub_f32 v28, v16, v37
	s_delay_alu instid0(VALU_DEP_4) | instskip(SKIP_3) | instid1(VALU_DEP_4)
	v_fmamk_f32 v67, v14, 0xbf737871, v9
	v_fmac_f32_e32 v9, 0x3f737871, v14
	v_add_f32_e32 v14, v16, v70
	v_dual_add_f32 v19, v12, v19 :: v_dual_sub_f32 v66, v70, v68
	v_dual_add_f32 v16, v8, v16 :: v_dual_fmac_f32 v67, 0xbf167918, v73
	s_delay_alu instid0(VALU_DEP_3) | instskip(NEXT) | instid1(VALU_DEP_3)
	v_fma_f32 v12, -0.5, v14, v8
	v_add_f32_e32 v28, v28, v66
	s_delay_alu instid0(VALU_DEP_3) | instskip(NEXT) | instid1(VALU_DEP_3)
	v_add_f32_e32 v16, v37, v16
	v_fmamk_f32 v14, v72, 0xbf737871, v12
	v_fmac_f32_e32 v12, 0x3f737871, v72
	v_fmac_f32_e32 v9, 0x3f167918, v73
	s_delay_alu instid0(VALU_DEP_3) | instskip(NEXT) | instid1(VALU_DEP_3)
	v_dual_sub_f32 v73, v68, v70 :: v_dual_fmac_f32 v14, 0x3f167918, v0
	v_fmac_f32_e32 v12, 0xbf167918, v0
	v_fmac_f32_e32 v67, 0x3e9e377a, v19
	s_delay_alu instid0(VALU_DEP_4) | instskip(NEXT) | instid1(VALU_DEP_4)
	v_fmac_f32_e32 v9, 0x3e9e377a, v19
	v_add_f32_e32 v19, v71, v73
	v_add_f32_e32 v71, v37, v68
	v_mul_hi_u32 v73, 0x57619f1, v85
	s_delay_alu instid0(VALU_DEP_2) | instskip(SKIP_1) | instid1(VALU_DEP_3)
	v_fma_f32 v8, -0.5, v71, v8
	v_add_nc_u32_e32 v71, 0x7d, v85
	v_lshrrev_b32_e32 v37, 4, v73
	s_delay_alu instid0(VALU_DEP_3)
	v_fmamk_f32 v66, v0, 0x3f737871, v8
	v_fmac_f32_e32 v8, 0xbf737871, v0
	v_fmac_f32_e32 v12, 0x3e9e377a, v19
	v_add_f32_e32 v0, v16, v68
	v_mul_hi_u32 v16, 0x57619f1, v71
	v_mul_u32_u24_e32 v73, 0x2ee, v37
	v_lshlrev_b64_e32 v[37:38], 3, v[38:39]
	v_fmac_f32_e32 v66, 0x3f167918, v72
	v_add_f32_e32 v68, v0, v70
	v_fmac_f32_e32 v8, 0xbf167918, v72
	v_sub_nc_u32_e32 v0, v85, v73
	v_fmac_f32_e32 v14, 0x3e9e377a, v19
	v_lshrrev_b32_e32 v16, 4, v16
	v_add_co_u32 v37, vcc_lo, s6, v37
	s_wait_alu 0xfffd
	v_add_co_ci_u32_e32 v38, vcc_lo, s7, v38, vcc_lo
	s_delay_alu instid0(VALU_DEP_3)
	v_mul_u32_u24_e32 v39, 0x2ee, v16
	v_lshlrev_b32_e32 v0, 3, v0
	v_add_co_u32 v70, vcc_lo, v37, v4
	s_wait_alu 0xfffd
	v_add_co_ci_u32_e32 v72, vcc_lo, v38, v5, vcc_lo
	v_sub_nc_u32_e32 v37, v71, v39
	s_delay_alu instid0(VALU_DEP_3) | instskip(SKIP_1) | instid1(VALU_DEP_3)
	v_add_co_u32 v4, vcc_lo, v70, v0
	s_wait_alu 0xfffd
	v_add_co_ci_u32_e32 v5, vcc_lo, 0, v72, vcc_lo
	s_delay_alu instid0(VALU_DEP_3)
	v_mad_u32_u24 v0, 0xea6, v16, v37
	v_add_nc_u32_e32 v16, 0xfa, v85
	v_fmac_f32_e32 v8, 0x3e9e377a, v28
	v_fmac_f32_e32 v66, 0x3e9e377a, v28
	s_clause 0x4
	global_store_b64 v[4:5], v[68:69], off
	global_store_b64 v[4:5], v[8:9], off offset:6000
	global_store_b64 v[4:5], v[12:13], off offset:12000
	;; [unrolled: 1-line block ×4, first 2 shown]
	v_dual_mov_b32 v9, v1 :: v_dual_add_nc_u32 v8, 0x2ee, v0
	v_mul_hi_u32 v19, 0x57619f1, v16
	v_lshlrev_b64_e32 v[4:5], 3, v[0:1]
	v_dual_mov_b32 v13, v1 :: v_dual_add_nc_u32 v12, 0x5dc, v0
	s_delay_alu instid0(VALU_DEP_4) | instskip(SKIP_1) | instid1(VALU_DEP_4)
	v_lshlrev_b64_e32 v[8:9], 3, v[8:9]
	v_dual_mov_b32 v15, v1 :: v_dual_add_nc_u32 v14, 0x8ca, v0
	v_add_co_u32 v4, vcc_lo, v70, v4
	s_delay_alu instid0(VALU_DEP_4)
	v_lshlrev_b64_e32 v[12:13], 3, v[12:13]
	v_add_nc_u32_e32 v0, 0xbb8, v0
	v_lshrrev_b32_e32 v19, 4, v19
	s_wait_alu 0xfffd
	v_add_co_ci_u32_e32 v5, vcc_lo, v72, v5, vcc_lo
	v_add_co_u32 v8, vcc_lo, v70, v8
	v_lshlrev_b64_e32 v[14:15], 3, v[14:15]
	s_wait_alu 0xfffd
	v_add_co_ci_u32_e32 v9, vcc_lo, v72, v9, vcc_lo
	v_lshlrev_b64_e32 v[37:38], 3, v[0:1]
	v_mul_u32_u24_e32 v0, 0x2ee, v19
	v_add_co_u32 v12, vcc_lo, v70, v12
	s_wait_alu 0xfffd
	v_add_co_ci_u32_e32 v13, vcc_lo, v72, v13, vcc_lo
	v_add_co_u32 v14, vcc_lo, v70, v14
	v_sub_nc_u32_e32 v0, v16, v0
	v_add_nc_u32_e32 v16, 0x177, v85
	s_wait_alu 0xfffd
	v_add_co_ci_u32_e32 v15, vcc_lo, v72, v15, vcc_lo
	v_add_co_u32 v37, vcc_lo, v70, v37
	s_wait_alu 0xfffd
	v_add_co_ci_u32_e32 v38, vcc_lo, v72, v38, vcc_lo
	v_mad_u32_u24 v0, 0xea6, v19, v0
	s_clause 0x4
	global_store_b64 v[4:5], v[10:11], off
	global_store_b64 v[8:9], v[58:59], off
	;; [unrolled: 1-line block ×5, first 2 shown]
	v_mul_hi_u32 v14, 0x57619f1, v16
	v_mov_b32_e32 v9, v1
	v_dual_mov_b32 v11, v1 :: v_dual_add_nc_u32 v8, 0x2ee, v0
	v_lshlrev_b64_e32 v[4:5], 3, v[0:1]
	v_add_nc_u32_e32 v10, 0x5dc, v0
	v_add_nc_u32_e32 v12, 0x8ca, v0
	;; [unrolled: 1-line block ×3, first 2 shown]
	v_lshrrev_b32_e32 v19, 4, v14
	v_lshlrev_b64_e32 v[8:9], 3, v[8:9]
	v_mov_b32_e32 v13, v1
	v_add_co_u32 v4, vcc_lo, v70, v4
	v_lshlrev_b64_e32 v[10:11], 3, v[10:11]
	v_lshlrev_b64_e32 v[14:15], 3, v[0:1]
	v_mul_u32_u24_e32 v0, 0x2ee, v19
	s_wait_alu 0xfffd
	v_add_co_ci_u32_e32 v5, vcc_lo, v72, v5, vcc_lo
	v_add_co_u32 v8, vcc_lo, v70, v8
	v_lshlrev_b64_e32 v[12:13], 3, v[12:13]
	s_wait_alu 0xfffd
	v_add_co_ci_u32_e32 v9, vcc_lo, v72, v9, vcc_lo
	v_sub_nc_u32_e32 v0, v16, v0
	v_add_co_u32 v10, vcc_lo, v70, v10
	s_wait_alu 0xfffd
	v_add_co_ci_u32_e32 v11, vcc_lo, v72, v11, vcc_lo
	v_add_co_u32 v12, vcc_lo, v70, v12
	v_mad_u32_u24 v0, 0xea6, v19, v0
	v_add_nc_u32_e32 v16, 0x1f4, v85
	s_wait_alu 0xfffd
	v_add_co_ci_u32_e32 v13, vcc_lo, v72, v13, vcc_lo
	v_add_co_u32 v14, vcc_lo, v70, v14
	s_wait_alu 0xfffd
	v_add_co_ci_u32_e32 v15, vcc_lo, v72, v15, vcc_lo
	s_clause 0x4
	global_store_b64 v[4:5], v[60:61], off
	global_store_b64 v[8:9], v[50:51], off
	;; [unrolled: 1-line block ×5, first 2 shown]
	v_dual_mov_b32 v9, v1 :: v_dual_add_nc_u32 v8, 0x2ee, v0
	v_mul_hi_u32 v14, 0x57619f1, v16
	v_lshlrev_b64_e32 v[4:5], 3, v[0:1]
	v_dual_mov_b32 v11, v1 :: v_dual_add_nc_u32 v10, 0x5dc, v0
	s_delay_alu instid0(VALU_DEP_4) | instskip(SKIP_1) | instid1(VALU_DEP_4)
	v_lshlrev_b64_e32 v[8:9], 3, v[8:9]
	v_dual_mov_b32 v13, v1 :: v_dual_add_nc_u32 v12, 0x8ca, v0
	v_add_co_u32 v4, vcc_lo, v70, v4
	s_delay_alu instid0(VALU_DEP_4)
	v_lshlrev_b64_e32 v[10:11], 3, v[10:11]
	v_add_nc_u32_e32 v0, 0xbb8, v0
	v_lshrrev_b32_e32 v19, 4, v14
	s_wait_alu 0xfffd
	v_add_co_ci_u32_e32 v5, vcc_lo, v72, v5, vcc_lo
	v_add_co_u32 v8, vcc_lo, v70, v8
	v_lshlrev_b64_e32 v[12:13], 3, v[12:13]
	s_wait_alu 0xfffd
	v_add_co_ci_u32_e32 v9, vcc_lo, v72, v9, vcc_lo
	v_lshlrev_b64_e32 v[14:15], 3, v[0:1]
	v_mul_u32_u24_e32 v0, 0x2ee, v19
	v_add_co_u32 v10, vcc_lo, v70, v10
	s_wait_alu 0xfffd
	v_add_co_ci_u32_e32 v11, vcc_lo, v72, v11, vcc_lo
	v_add_co_u32 v12, vcc_lo, v70, v12
	v_sub_nc_u32_e32 v0, v16, v0
	v_add_nc_u32_e32 v16, 0x271, v85
	s_wait_alu 0xfffd
	v_add_co_ci_u32_e32 v13, vcc_lo, v72, v13, vcc_lo
	v_add_co_u32 v14, vcc_lo, v70, v14
	s_wait_alu 0xfffd
	v_add_co_ci_u32_e32 v15, vcc_lo, v72, v15, vcc_lo
	s_clause 0x4
	global_store_b64 v[4:5], v[17:18], off
	global_store_b64 v[8:9], v[42:43], off
	;; [unrolled: 1-line block ×5, first 2 shown]
	v_mul_hi_u32 v14, 0x57619f1, v16
	v_mad_u32_u24 v0, 0xea6, v19, v0
	v_mov_b32_e32 v9, v1
	v_mov_b32_e32 v11, v1
	s_delay_alu instid0(VALU_DEP_3)
	v_dual_mov_b32 v13, v1 :: v_dual_add_nc_u32 v8, 0x2ee, v0
	v_lshlrev_b64_e32 v[4:5], 3, v[0:1]
	v_lshrrev_b32_e32 v17, 4, v14
	v_add_nc_u32_e32 v10, 0x5dc, v0
	v_add_nc_u32_e32 v12, 0x8ca, v0
	;; [unrolled: 1-line block ×3, first 2 shown]
	v_lshlrev_b64_e32 v[8:9], 3, v[8:9]
	v_mul_u32_u24_e32 v18, 0x2ee, v17
	v_add_co_u32 v4, vcc_lo, v70, v4
	v_lshlrev_b64_e32 v[10:11], 3, v[10:11]
	v_lshlrev_b64_e32 v[14:15], 3, v[0:1]
	s_delay_alu instid0(VALU_DEP_4)
	v_sub_nc_u32_e32 v0, v16, v18
	s_wait_alu 0xfffd
	v_add_co_ci_u32_e32 v5, vcc_lo, v72, v5, vcc_lo
	v_add_co_u32 v8, vcc_lo, v70, v8
	v_lshlrev_b64_e32 v[12:13], 3, v[12:13]
	s_wait_alu 0xfffd
	v_add_co_ci_u32_e32 v9, vcc_lo, v72, v9, vcc_lo
	v_add_co_u32 v10, vcc_lo, v70, v10
	v_mad_u32_u24 v0, 0xea6, v17, v0
	s_wait_alu 0xfffd
	v_add_co_ci_u32_e32 v11, vcc_lo, v72, v11, vcc_lo
	v_add_co_u32 v12, vcc_lo, v70, v12
	s_wait_alu 0xfffd
	v_add_co_ci_u32_e32 v13, vcc_lo, v72, v13, vcc_lo
	v_dual_mov_b32 v17, v1 :: v_dual_add_nc_u32 v16, 0x2ee, v0
	s_clause 0x3
	global_store_b64 v[4:5], v[26:27], off
	global_store_b64 v[8:9], v[35:36], off
	;; [unrolled: 1-line block ×4, first 2 shown]
	v_mov_b32_e32 v13, v1
	v_lshlrev_b64_e32 v[4:5], 3, v[0:1]
	v_dual_mov_b32 v11, v1 :: v_dual_add_nc_u32 v10, 0x5dc, v0
	v_add_co_u32 v14, vcc_lo, v70, v14
	v_lshlrev_b64_e32 v[8:9], 3, v[16:17]
	v_add_nc_u32_e32 v12, 0x8ca, v0
	s_wait_alu 0xfffd
	v_add_co_ci_u32_e32 v15, vcc_lo, v72, v15, vcc_lo
	v_add_co_u32 v4, vcc_lo, v70, v4
	v_lshlrev_b64_e32 v[10:11], 3, v[10:11]
	v_add_nc_u32_e32 v0, 0xbb8, v0
	s_wait_alu 0xfffd
	v_add_co_ci_u32_e32 v5, vcc_lo, v72, v5, vcc_lo
	v_add_co_u32 v8, vcc_lo, v70, v8
	v_lshlrev_b64_e32 v[12:13], 3, v[12:13]
	s_wait_alu 0xfffd
	v_add_co_ci_u32_e32 v9, vcc_lo, v72, v9, vcc_lo
	v_add_co_u32 v10, vcc_lo, v70, v10
	v_lshlrev_b64_e32 v[0:1], 3, v[0:1]
	s_wait_alu 0xfffd
	v_add_co_ci_u32_e32 v11, vcc_lo, v72, v11, vcc_lo
	v_add_co_u32 v12, vcc_lo, v70, v12
	s_wait_alu 0xfffd
	v_add_co_ci_u32_e32 v13, vcc_lo, v72, v13, vcc_lo
	v_add_co_u32 v0, vcc_lo, v70, v0
	s_wait_alu 0xfffd
	v_add_co_ci_u32_e32 v1, vcc_lo, v72, v1, vcc_lo
	s_clause 0x5
	global_store_b64 v[14:15], v[22:23], off
	global_store_b64 v[4:5], v[20:21], off
	;; [unrolled: 1-line block ×6, first 2 shown]
.LBB0_15:
	s_nop 0
	s_sendmsg sendmsg(MSG_DEALLOC_VGPRS)
	s_endpgm
	.section	.rodata,"a",@progbits
	.p2align	6, 0x0
	.amdhsa_kernel fft_rtc_back_len3750_factors_3_5_5_10_5_wgs_125_tpt_125_halfLds_sp_op_CI_CI_unitstride_sbrr_dirReg
		.amdhsa_group_segment_fixed_size 0
		.amdhsa_private_segment_fixed_size 0
		.amdhsa_kernarg_size 104
		.amdhsa_user_sgpr_count 2
		.amdhsa_user_sgpr_dispatch_ptr 0
		.amdhsa_user_sgpr_queue_ptr 0
		.amdhsa_user_sgpr_kernarg_segment_ptr 1
		.amdhsa_user_sgpr_dispatch_id 0
		.amdhsa_user_sgpr_private_segment_size 0
		.amdhsa_wavefront_size32 1
		.amdhsa_uses_dynamic_stack 0
		.amdhsa_enable_private_segment 0
		.amdhsa_system_sgpr_workgroup_id_x 1
		.amdhsa_system_sgpr_workgroup_id_y 0
		.amdhsa_system_sgpr_workgroup_id_z 0
		.amdhsa_system_sgpr_workgroup_info 0
		.amdhsa_system_vgpr_workitem_id 0
		.amdhsa_next_free_vgpr 158
		.amdhsa_next_free_sgpr 39
		.amdhsa_reserve_vcc 1
		.amdhsa_float_round_mode_32 0
		.amdhsa_float_round_mode_16_64 0
		.amdhsa_float_denorm_mode_32 3
		.amdhsa_float_denorm_mode_16_64 3
		.amdhsa_fp16_overflow 0
		.amdhsa_workgroup_processor_mode 1
		.amdhsa_memory_ordered 1
		.amdhsa_forward_progress 0
		.amdhsa_round_robin_scheduling 0
		.amdhsa_exception_fp_ieee_invalid_op 0
		.amdhsa_exception_fp_denorm_src 0
		.amdhsa_exception_fp_ieee_div_zero 0
		.amdhsa_exception_fp_ieee_overflow 0
		.amdhsa_exception_fp_ieee_underflow 0
		.amdhsa_exception_fp_ieee_inexact 0
		.amdhsa_exception_int_div_zero 0
	.end_amdhsa_kernel
	.text
.Lfunc_end0:
	.size	fft_rtc_back_len3750_factors_3_5_5_10_5_wgs_125_tpt_125_halfLds_sp_op_CI_CI_unitstride_sbrr_dirReg, .Lfunc_end0-fft_rtc_back_len3750_factors_3_5_5_10_5_wgs_125_tpt_125_halfLds_sp_op_CI_CI_unitstride_sbrr_dirReg
                                        ; -- End function
	.section	.AMDGPU.csdata,"",@progbits
; Kernel info:
; codeLenInByte = 20716
; NumSgprs: 41
; NumVgprs: 158
; ScratchSize: 0
; MemoryBound: 0
; FloatMode: 240
; IeeeMode: 1
; LDSByteSize: 0 bytes/workgroup (compile time only)
; SGPRBlocks: 5
; VGPRBlocks: 19
; NumSGPRsForWavesPerEU: 41
; NumVGPRsForWavesPerEU: 158
; Occupancy: 9
; WaveLimiterHint : 1
; COMPUTE_PGM_RSRC2:SCRATCH_EN: 0
; COMPUTE_PGM_RSRC2:USER_SGPR: 2
; COMPUTE_PGM_RSRC2:TRAP_HANDLER: 0
; COMPUTE_PGM_RSRC2:TGID_X_EN: 1
; COMPUTE_PGM_RSRC2:TGID_Y_EN: 0
; COMPUTE_PGM_RSRC2:TGID_Z_EN: 0
; COMPUTE_PGM_RSRC2:TIDIG_COMP_CNT: 0
	.text
	.p2alignl 7, 3214868480
	.fill 96, 4, 3214868480
	.type	__hip_cuid_5c90a617d3530a4c,@object ; @__hip_cuid_5c90a617d3530a4c
	.section	.bss,"aw",@nobits
	.globl	__hip_cuid_5c90a617d3530a4c
__hip_cuid_5c90a617d3530a4c:
	.byte	0                               ; 0x0
	.size	__hip_cuid_5c90a617d3530a4c, 1

	.ident	"AMD clang version 19.0.0git (https://github.com/RadeonOpenCompute/llvm-project roc-6.4.0 25133 c7fe45cf4b819c5991fe208aaa96edf142730f1d)"
	.section	".note.GNU-stack","",@progbits
	.addrsig
	.addrsig_sym __hip_cuid_5c90a617d3530a4c
	.amdgpu_metadata
---
amdhsa.kernels:
  - .args:
      - .actual_access:  read_only
        .address_space:  global
        .offset:         0
        .size:           8
        .value_kind:     global_buffer
      - .offset:         8
        .size:           8
        .value_kind:     by_value
      - .actual_access:  read_only
        .address_space:  global
        .offset:         16
        .size:           8
        .value_kind:     global_buffer
      - .actual_access:  read_only
        .address_space:  global
        .offset:         24
        .size:           8
        .value_kind:     global_buffer
      - .actual_access:  read_only
        .address_space:  global
        .offset:         32
        .size:           8
        .value_kind:     global_buffer
      - .offset:         40
        .size:           8
        .value_kind:     by_value
      - .actual_access:  read_only
        .address_space:  global
        .offset:         48
        .size:           8
        .value_kind:     global_buffer
      - .actual_access:  read_only
        .address_space:  global
        .offset:         56
        .size:           8
        .value_kind:     global_buffer
      - .offset:         64
        .size:           4
        .value_kind:     by_value
      - .actual_access:  read_only
        .address_space:  global
        .offset:         72
        .size:           8
        .value_kind:     global_buffer
      - .actual_access:  read_only
        .address_space:  global
        .offset:         80
        .size:           8
        .value_kind:     global_buffer
      - .actual_access:  read_only
        .address_space:  global
        .offset:         88
        .size:           8
        .value_kind:     global_buffer
      - .actual_access:  write_only
        .address_space:  global
        .offset:         96
        .size:           8
        .value_kind:     global_buffer
    .group_segment_fixed_size: 0
    .kernarg_segment_align: 8
    .kernarg_segment_size: 104
    .language:       OpenCL C
    .language_version:
      - 2
      - 0
    .max_flat_workgroup_size: 125
    .name:           fft_rtc_back_len3750_factors_3_5_5_10_5_wgs_125_tpt_125_halfLds_sp_op_CI_CI_unitstride_sbrr_dirReg
    .private_segment_fixed_size: 0
    .sgpr_count:     41
    .sgpr_spill_count: 0
    .symbol:         fft_rtc_back_len3750_factors_3_5_5_10_5_wgs_125_tpt_125_halfLds_sp_op_CI_CI_unitstride_sbrr_dirReg.kd
    .uniform_work_group_size: 1
    .uses_dynamic_stack: false
    .vgpr_count:     158
    .vgpr_spill_count: 0
    .wavefront_size: 32
    .workgroup_processor_mode: 1
amdhsa.target:   amdgcn-amd-amdhsa--gfx1201
amdhsa.version:
  - 1
  - 2
...

	.end_amdgpu_metadata
